;; amdgpu-corpus repo=ROCm/aiter kind=harvested arch=n/a opt=n/a

/root/src/amdgpu-assembly/repos/ROCm__aiter/hsa/gfx950/mla/mla_a16w16_qh64_qseqlen1_gqaratio64_lse_v3.co:	file format elf64-amdgpu

Disassembly of section .text:

0000000000002500 <_ZN5aiter42mla_a16w16_qh64_qseqlen1_gqaratio64_lse_v3E>:
	s_and_b32 s1, s1, 0xffff                                   // 000000002500: 8601FF01 0000FFFF
	s_load_dwordx2 s[8:9], s[0:1], 0x0                         // 000000002508: C0060200 00000000
	s_load_dwordx2 s[12:13], s[0:1], 0x10                      // 000000002510: C0060300 00000010
	s_load_dwordx2 s[16:17], s[0:1], 0x20                      // 000000002518: C0060400 00000020
	s_load_dwordx2 s[20:21], s[0:1], 0x30                      // 000000002520: C0060500 00000030
	s_load_dwordx2 s[28:29], s[0:1], 0x40                      // 000000002528: C0060700 00000040
	s_load_dwordx2 s[24:25], s[0:1], 0x50                      // 000000002530: C0060600 00000050
	s_load_dwordx2 s[30:31], s[0:1], 0x60                      // 000000002538: C0060780 00000060
	s_load_dword s64, s[0:1], 0x70                             // 000000002540: C0021000 00000070
	s_load_dword s65, s[0:1], 0x80                             // 000000002548: C0021040 00000080
	s_load_dword s92, s[0:1], 0x90                             // 000000002550: C0021700 00000090
	s_load_dword s66, s[0:1], 0xa0                             // 000000002558: C0021080 000000A0
	s_load_dword s68, s[0:1], 0xb0                             // 000000002560: C0021100 000000B0
	s_load_dword s69, s[0:1], 0xc0                             // 000000002568: C0021140 000000C0
	s_load_dwordx2 s[32:33], s[0:1], 0xd0                      // 000000002570: C0060800 000000D0
	s_load_dwordx2 s[88:89], s[0:1], 0xe0                      // 000000002578: C0061600 000000E0
	s_load_dwordx2 s[96:97], s[0:1], 0x130                     // 000000002580: C0061800 00000130
	v_lshrrev_b32_e32 v1, 10, v0                               // 000000002588: 2002008A
	v_lshrrev_b32_e32 v2, 10, v1                               // 00000000258C: 2004028A
	v_and_b32_e32 v2, 0x3ff, v2                                // 000000002590: 260404FF 000003FF
	v_and_b32_e32 v1, 0x3ff, v1                                // 000000002598: 260202FF 000003FF
	v_and_b32_e32 v0, 0x3ff, v0                                // 0000000025A0: 260000FF 000003FF
	v_lshrrev_b32_e32 v3, 6, v0                                // 0000000025A8: 20060086
	v_and_b32_e32 v0, 63, v0                                   // 0000000025AC: 260000BF
	s_mov_b32 s2, s2                                           // 0000000025B0: BE820002
	s_mov_b32 s3, s3                                           // 0000000025B4: BE830003
	s_mov_b32 s4, s4                                           // 0000000025B8: BE840004
	v_readfirstlane_b32 s7, v3                                 // 0000000025BC: 7E0E0503
	s_waitcnt lgkmcnt(0)                                       // 0000000025C0: BF8CC07F
	s_min_u32 s76, 16, s65                                     // 0000000025C4: 83CC4190
	s_mul_i32 s56, s3, 4                                       // 0000000025C8: 92388403
	s_and_b32 s29, s29, 0xffff                                 // 0000000025CC: 861DFF1D 0000FFFF
	s_and_b32 s31, s31, 0xffff                                 // 0000000025D4: 861FFF1F 0000FFFF
	s_add_u32 s28, s56, s28                                    // 0000000025DC: 801C1C38
	s_addc_u32 s29, 0, s29                                     // 0000000025E0: 821D1D80
	s_load_dword s47, s[28:29], 0x0                            // 0000000025E4: C0020BCE 00000000
	s_load_dword s46, s[28:29], 0x4                            // 0000000025EC: C0020B8E 00000004
	s_mul_i32 s56, s3, 4                                       // 0000000025F4: 92388403
	s_and_b32 s89, s89, 0xffff                                 // 0000000025F8: 8659FF59 0000FFFF
	s_add_u32 s88, s56, s88                                    // 000000002600: 80585838
	s_addc_u32 s89, 0, s89                                     // 000000002604: 82595980
	s_load_dword s86, s[88:89], 0x0                            // 000000002608: C00215AC 00000000
	s_load_dword s85, s[88:89], 0x4                            // 000000002610: C002156C 00000004
	s_and_b32 s33, s33, 0xffff                                 // 000000002618: 8621FF21 0000FFFF
	s_add_u32 s32, s56, s32                                    // 000000002620: 80202038
	s_addc_u32 s33, 0, s33                                     // 000000002624: 82212180
	s_load_dword s79, s[32:33], 0x0                            // 000000002628: C00213D0 00000000
	s_load_dword s78, s[32:33], 0x4                            // 000000002630: C0021390 00000004
	s_waitcnt lgkmcnt(0)                                       // 000000002638: BF8CC07F
	s_sub_u32 s87, s85, s86                                    // 00000000263C: 80D75655
	s_cmp_le_u32 s87, s4                                       // 000000002640: BF0B0457
	s_cbranch_scc1 label_BEE0                                  // 000000002644: BF852EE4
	s_mov_b32 s67, s87                                         // 000000002648: BEC30057
	s_sub_u32 s81, s78, s79                                    // 00000000264C: 80D14F4E
	s_mul_i32 s56, 0x800, s65                                  // 000000002650: 923841FF 00000800
	s_mul_i32 s57, 0x400, s65                                  // 000000002658: 923941FF 00000400
	s_cmp_eq_u32 s67, 1                                        // 000000002660: BF068143
	s_cselect_b32 s75, s57, s56                                // 000000002664: 854B3839
	s_mul_i32 s74, 0x480, s65                                  // 000000002668: 924A41FF 00000480
	s_mul_i32 s56, 4, s65                                      // 000000002670: 92384184
	s_mov_b32 s10, s75                                         // 000000002674: BE8A004B
	s_mov_b32 s18, s74                                         // 000000002678: BE92004A
	s_mov_b32 s14, s56                                         // 00000000267C: BE8E0038
	s_mov_b32 s98, s56                                         // 000000002680: BEE20038
	s_mov_b32 s22, -16                                         // 000000002684: BE9600D0
	s_mov_b32 s26, -16                                         // 000000002688: BE9A00D0
	s_mov_b32 s11, 0x20000                                     // 00000000268C: BE8B00FF 00020000
	s_mov_b32 s19, 0x20000                                     // 000000002694: BE9300FF 00020000
	s_mov_b32 s15, 0x20000                                     // 00000000269C: BE8F00FF 00020000
	s_mov_b32 s99, 0x20000                                     // 0000000026A4: BEE300FF 00020000
	s_mov_b32 s23, 0x20000                                     // 0000000026AC: BE9700FF 00020000
	s_mov_b32 s27, 0x20000                                     // 0000000026B4: BE9B00FF 00020000
	s_and_b32 s9, s9, 0xffff                                   // 0000000026BC: 8609FF09 0000FFFF
	s_and_b32 s17, s17, 0xffff                                 // 0000000026C4: 8611FF11 0000FFFF
	s_and_b32 s13, s13, 0xffff                                 // 0000000026CC: 860DFF0D 0000FFFF
	s_and_b32 s97, s97, 0xffff                                 // 0000000026D4: 8661FF61 0000FFFF
	s_and_b32 s21, s21, 0xffff                                 // 0000000026DC: 8615FF15 0000FFFF
	s_and_b32 s25, s25, 0xffff                                 // 0000000026E4: 8619FF19 0000FFFF
	s_or_b32 s9, s9, 0x40000                                   // 0000000026EC: 8709FF09 00040000
	s_or_b32 s17, s17, 0x40000                                 // 0000000026F4: 8711FF11 00040000
	s_or_b32 s13, s13, 0x40000                                 // 0000000026FC: 870DFF0D 00040000
	s_or_b32 s97, s97, 0x40000                                 // 000000002704: 8761FF61 00040000
	s_or_b32 s21, s21, 0x40000                                 // 00000000270C: 8715FF15 00040000
	s_or_b32 s25, s25, 0x40000                                 // 000000002714: 8719FF19 00040000
	s_waitcnt lgkmcnt(0)                                       // 00000000271C: BF8CC07F
	s_mov_b32 s69, 0                                           // 000000002720: BEC50080
	s_lshr_b32 s44, 32, s69                                    // 000000002724: 8F2C45A0
	s_mul_i32 s73, s44, 4                                      // 000000002728: 9249842C
	s_mul_i32 s73, s73, s67                                    // 00000000272C: 92494349
	s_mul_i32 s45, s4, s44                                     // 000000002730: 922D2C04
	s_sub_u32 s50, s46, s47                                    // 000000002734: 80B22F2E
	s_cmp_le_u32 s50, s45                                      // 000000002738: BF0B2D32
	s_cbranch_scc1 label_BEE0                                  // 00000000273C: BF852EA6
	s_mul_i32 s56, s50, 4                                      // 000000002740: 92388432
	s_mov_b32 s26, s56                                         // 000000002744: BE9A0038
	s_mul_i32 s56, s47, 4                                      // 000000002748: 9238842F
	s_add_u32 s24, s56, s24                                    // 00000000274C: 80181838
	s_addc_u32 s25, 0, s25                                     // 000000002750: 82191980
	s_mov_b32 s70, 0                                           // 000000002754: BEC60080
	s_sub_u32 s71, s50, s45                                    // 000000002758: 80C72D32
	s_mul_i32 s37, s67, s44                                    // 00000000275C: 92252C43
	s_mov_b32 s36, s71                                         // 000000002760: BEA40047
	v_cvt_f32_u32_e32 v28, s37                                 // 000000002764: 7E380C25
	s_sub_i32 s56, 0, s37                                      // 000000002768: 81B82580
	v_rcp_iflag_f32_e32 v28, v28                               // 00000000276C: 7E38471C
	s_nop 0                                                    // 000000002770: BF800000
	v_mul_f32_e32 v28, 0x4f7ffffe, v28                         // 000000002774: 0A3838FF 4F7FFFFE
	v_cvt_u32_f32_e32 v28, v28                                 // 00000000277C: 7E380F1C
	v_mul_lo_u32 v29, s56, v28                                 // 000000002780: D285001D 00023838
	v_mul_hi_u32 v29, v28, v29                                 // 000000002788: D286001D 00023B1C
	v_add_u32_e32 v28, v28, v29                                // 000000002790: 68383B1C
	v_mul_hi_u32 v28, s36, v28                                 // 000000002794: D286001C 00023824
	v_mul_lo_u32 v29, v28, s37                                 // 00000000279C: D285001D 00004B1C
	v_sub_u32_e32 v31, s36, v29                                // 0000000027A4: 6A3E3A24
	v_add_u32_e32 v30, 1, v28                                  // 0000000027A8: 683C3881
	v_cmp_le_u32_e32 vcc, s37, v31                             // 0000000027AC: 7D963E25
	v_subrev_u32_e32 v29, s37, v31                             // 0000000027B0: 6C3A3E25
	s_nop 0                                                    // 0000000027B4: BF800000
	v_cndmask_b32_e32 v28, v28, v30, vcc                       // 0000000027B8: 00383D1C
	v_cndmask_b32_e32 v31, v31, v29, vcc                       // 0000000027BC: 003E3B1F
	v_add_u32_e32 v29, 1, v28                                  // 0000000027C0: 683A3881
	v_cmp_le_u32_e32 vcc, s37, v31                             // 0000000027C4: 7D963E25
	s_nop 1                                                    // 0000000027C8: BF800001
	v_cndmask_b32_e32 v31, v28, v29, vcc                       // 0000000027CC: 003E3B1C
	s_nop 3                                                    // 0000000027D0: BF800003
	v_readfirstlane_b32 s38, v31                               // 0000000027D4: 7E4C051F
	s_nop 3                                                    // 0000000027D8: BF800003
	s_mov_b32 s71, s38                                         // 0000000027DC: BEC70026
	s_mul_i32 s56, s71, s37                                    // 0000000027E0: 92382547
	s_sub_u32 s56, s36, s56                                    // 0000000027E4: 80B83824
	s_mov_b32 s57, 0                                           // 0000000027E8: BEB90080
	s_cmp_lt_u32 s56, s44                                      // 0000000027EC: BF0A2C38
	s_cselect_b32 s57, s57, 1                                  // 0000000027F0: 85398139
	s_add_u32 s71, s57, s71                                    // 0000000027F4: 80474739
	s_cmpk_eq_u32 s57, 0x1                                     // 0000000027F8: B4390001
	s_cselect_b32 s49, 0, s56                                  // 0000000027FC: 85313880
	s_mov_b32 s48, s49                                         // 000000002800: BEB00031
	v_lshrrev_b32_e32 v28, 2, v0                               // 000000002804: 20380082
	s_lshr_b32 s57, s7, 1                                      // 000000002808: 8F398107
	s_mul_i32 s56, 16, s57                                     // 00000000280C: 92383990
	v_add_u32_e64 v26, v28, s56                                // 000000002810: D134001A 0000711C
	v_add_u32_e32 v26, s45, v26                                // 000000002818: 6834342D
	v_lshlrev_b32_e32 v26, 2, v26                              // 00000000281C: 24343482
	buffer_load_dword v22, v26, s[24:27], 0 offen              // 000000002820: E0501000 8006161A
	v_add_u32_e32 v26, s73, v26                                // 000000002828: 68343449
	buffer_load_dword v23, v26, s[24:27], 0 offen              // 00000000282C: E0501000 8006171A
	v_add_u32_e32 v26, s73, v26                                // 000000002834: 68343449
	s_mul_i32 s56, s3, s66                                     // 000000002838: 92384203
	s_add_u32 s16, s56, s16                                    // 00000000283C: 80101038
	s_addc_u32 s17, 0, s17                                     // 000000002840: 82111180
	s_mul_i32 s56, s7, 0x400                                   // 000000002844: 9238FF07 00000400
	s_add_u32 m0, 0, s56                                       // 00000000284C: 807C3880
	v_and_b32_e32 v28, 3, v0                                   // 000000002850: 26380083
	v_mov_b32_e32 v29, 0                                       // 000000002854: 7E3A0280
	s_mov_b32 s56, 0                                           // 000000002858: BEB80080
	s_mov_b32 s57, -1                                          // 00000000285C: BEB900C1
	v_cndmask_b32_e64 v30, v29, v28, s[56:57]                  // 000000002860: D100001E 00E2391D
	s_nop 2                                                    // 000000002868: BF800002
	v_mov_b32_dpp v30, v30 quad_perm:[2,3,0,1] row_mask:0xf bank_mask:0xf// 00000000286C: 7E3C02FA FF004E1E
	v_cndmask_b32_e64 v31, v28, v30, s[56:57]                  // 000000002874: D100001F 00E23D1C
	v_lshlrev_b32_e32 v31, 4, v31                              // 00000000287C: 243E3E84
	v_mov_b32_e32 v1, v31                                      // 000000002880: 7E02031F
	s_and_b32 s56, 1, s7                                       // 000000002884: 86380781
	s_mul_i32 s56, s56, 0x240                                  // 000000002888: 9238FF38 00000240
	v_add_u32_e64 v1, v1, s56                                  // 000000002890: D1340001 00007101
	v_lshrrev_b32_e32 v28, 2, v0                               // 000000002898: 20380082
	s_mov_b32 s56, 0x480                                       // 00000000289C: BEB800FF 00000480
	v_mul_i32_i24_e64 v28, v28, s56                            // 0000000028A4: D106001C 0000711C
	s_mul_i32 s56, s7, 64                                      // 0000000028AC: 9238C007
	v_add_u32_e32 v29, v28, v31                                // 0000000028B0: 683A3F1C
	v_add_u32_e64 v29, v29, s56                                // 0000000028B4: D134001D 0000711D
	buffer_load_dwordx4 v29, s[16:19], 0 offen lds             // 0000000028BC: E05D1000 8004001D
	s_add_u32 m0, m0, 0x1000                                   // 0000000028C4: 807CFF7C 00001000
	v_add_u32_e32 v29, 0x100, v29                              // 0000000028CC: 683A3AFF 00000100
	buffer_load_dwordx4 v29, s[16:19], 0 offen lds             // 0000000028D4: E05D1000 8004001D
	s_add_u32 m0, m0, 0x1000                                   // 0000000028DC: 807CFF7C 00001000
	v_add_u32_e32 v29, 0x100, v29                              // 0000000028E4: 683A3AFF 00000100
	buffer_load_dwordx4 v29, s[16:19], 0 offen lds             // 0000000028EC: E05D1000 8004001D
	s_add_u32 m0, m0, 0x1000                                   // 0000000028F4: 807CFF7C 00001000
	v_add_u32_e32 v29, 0x100, v29                              // 0000000028FC: 683A3AFF 00000100
	buffer_load_dwordx4 v29, s[16:19], 0 offen lds             // 000000002904: E05D1000 8004001D
	s_add_u32 m0, m0, 0x1000                                   // 00000000290C: 807CFF7C 00001000
	v_add_u32_e32 v29, 0x100, v29                              // 000000002914: 683A3AFF 00000100
	buffer_load_dwordx4 v29, s[16:19], 0 offen lds             // 00000000291C: E05D1000 8004001D
	s_add_u32 m0, m0, 0x1000                                   // 000000002924: 807CFF7C 00001000
	v_add_u32_e32 v29, 0x100, v29                              // 00000000292C: 683A3AFF 00000100
	v_add_u32_e32 v29, 0x4300, v29                             // 000000002934: 683A3AFF 00004300
	buffer_load_dwordx4 v29, s[16:19], 0 offen lds             // 00000000293C: E05D1000 8004001D
	s_add_u32 m0, m0, 0x1000                                   // 000000002944: 807CFF7C 00001000
	v_add_u32_e32 v29, 0x100, v29                              // 00000000294C: 683A3AFF 00000100
	buffer_load_dwordx4 v29, s[16:19], 0 offen lds             // 000000002954: E05D1000 8004001D
	s_add_u32 m0, m0, 0x1000                                   // 00000000295C: 807CFF7C 00001000
	v_add_u32_e32 v29, 0x100, v29                              // 000000002964: 683A3AFF 00000100
	buffer_load_dwordx4 v29, s[16:19], 0 offen lds             // 00000000296C: E05D1000 8004001D
	s_add_u32 m0, m0, 0x1000                                   // 000000002974: 807CFF7C 00001000
	v_add_u32_e32 v29, 0x100, v29                              // 00000000297C: 683A3AFF 00000100
	buffer_load_dwordx4 v29, s[16:19], 0 offen lds             // 000000002984: E05D1000 8004001D
	s_add_u32 m0, m0, 0x1000                                   // 00000000298C: 807CFF7C 00001000
	v_add_u32_e32 v29, 0x100, v29                              // 000000002994: 683A3AFF 00000100
	buffer_load_dwordx4 v29, s[16:19], 0 offen lds             // 00000000299C: E05D1000 8004001D
	s_add_u32 m0, m0, 0x1000                                   // 0000000029A4: 807CFF7C 00001000
	v_add_u32_e32 v29, 0x100, v29                              // 0000000029AC: 683A3AFF 00000100
	v_add_u32_e32 v29, 0x4300, v29                             // 0000000029B4: 683A3AFF 00004300
	buffer_load_dwordx4 v29, s[16:19], 0 offen lds             // 0000000029BC: E05D1000 8004001D
	s_add_u32 m0, m0, 0x1000                                   // 0000000029C4: 807CFF7C 00001000
	v_add_u32_e32 v29, 0x100, v29                              // 0000000029CC: 683A3AFF 00000100
	buffer_load_dwordx4 v29, s[16:19], 0 offen lds             // 0000000029D4: E05D1000 8004001D
	s_add_u32 m0, m0, 0x1000                                   // 0000000029DC: 807CFF7C 00001000
	v_add_u32_e32 v29, 0x100, v29                              // 0000000029E4: 683A3AFF 00000100
	buffer_load_dwordx4 v29, s[16:19], 0 offen lds             // 0000000029EC: E05D1000 8004001D
	s_add_u32 m0, m0, 0x1000                                   // 0000000029F4: 807CFF7C 00001000
	v_add_u32_e32 v29, 0x100, v29                              // 0000000029FC: 683A3AFF 00000100
	buffer_load_dwordx4 v29, s[16:19], 0 offen lds             // 000000002A04: E05D1000 8004001D
	s_add_u32 m0, m0, 0x1000                                   // 000000002A0C: 807CFF7C 00001000
	v_add_u32_e32 v29, 0x100, v29                              // 000000002A14: 683A3AFF 00000100
	buffer_load_dwordx4 v29, s[16:19], 0 offen lds             // 000000002A1C: E05D1000 8004001D
	s_add_u32 m0, m0, 0x1000                                   // 000000002A24: 807CFF7C 00001000
	v_add_u32_e32 v29, 0x100, v29                              // 000000002A2C: 683A3AFF 00000100
	v_add_u32_e32 v29, 0x4300, v29                             // 000000002A34: 683A3AFF 00004300
	buffer_load_dwordx4 v29, s[16:19], 0 offen lds             // 000000002A3C: E05D1000 8004001D
	s_add_u32 m0, m0, 0x1000                                   // 000000002A44: 807CFF7C 00001000
	v_add_u32_e32 v29, 0x100, v29                              // 000000002A4C: 683A3AFF 00000100
	buffer_load_dwordx4 v29, s[16:19], 0 offen lds             // 000000002A54: E05D1000 8004001D
	s_add_u32 m0, m0, 0x1000                                   // 000000002A5C: 807CFF7C 00001000
	v_add_u32_e32 v29, 0x100, v29                              // 000000002A64: 683A3AFF 00000100
	buffer_load_dwordx4 v29, s[16:19], 0 offen lds             // 000000002A6C: E05D1000 8004001D
	s_add_u32 m0, m0, 0x1000                                   // 000000002A74: 807CFF7C 00001000
	v_add_u32_e32 v29, 0x100, v29                              // 000000002A7C: 683A3AFF 00000100
	buffer_load_dwordx4 v29, s[16:19], 0 offen lds             // 000000002A84: E05D1000 8004001D
	s_add_u32 m0, m0, 0x1000                                   // 000000002A8C: 807CFF7C 00001000
	v_add_u32_e32 v29, 0x100, v29                              // 000000002A94: 683A3AFF 00000100
	buffer_load_dwordx4 v29, s[16:19], 0 offen lds             // 000000002A9C: E05D1000 8004001D
	s_add_u32 m0, m0, 0x1000                                   // 000000002AA4: 807CFF7C 00001000
	v_add_u32_e32 v29, 0x100, v29                              // 000000002AAC: 683A3AFF 00000100
	v_add_u32_e32 v29, 0x4300, v29                             // 000000002AB4: 683A3AFF 00004300
	s_mov_b32 s52, 0x7060302                                   // 000000002ABC: BEB400FF 07060302
	s_mov_b32 s53, 0x5040100                                   // 000000002AC4: BEB500FF 05040100
	s_mul_i32 s51, s7, 4                                       // 000000002ACC: 92338407
	s_mov_b32 s6, 0x3fb8aa3b                                   // 000000002AD0: BE8600FF 3FB8AA3B
	v_mov_b32_e32 v29, s6                                      // 000000002AD8: 7E3A0206
	v_mov_b32_e32 v28, s64                                     // 000000002ADC: 7E380240
	v_mul_f32_e32 v28, s6, v28                                 // 000000002AE0: 0A383806
	v_rcp_f32_e32 v29, v29                                     // 000000002AE4: 7E3A451D
	v_mov_b32_e32 v2, 0xff800000                               // 000000002AE8: 7E0402FF FF800000
	v_mov_b32_e32 v16, 0                                       // 000000002AF0: 7E200280
	v_mov_b32_e32 v4, 0                                        // 000000002AF4: 7E080280
	v_readfirstlane_b32 s5, v28                                // 000000002AF8: 7E0A051C
	v_readfirstlane_b32 s63, v29                               // 000000002AFC: 7E7E051D
	s_waitcnt vmcnt(20)                                        // 000000002B00: BF8C4F74
	v_mul_u32_u24_e64 v32, v22, s68                            // 000000002B04: D1080020 00008916
	v_add_u32_e32 v32, v32, v1                                 // 000000002B0C: 68400320
	s_mov_b32 s56, 0x14000                                     // 000000002B10: BEB800FF 00014000
	s_mul_i32 s57, s7, 0x2400                                  // 000000002B18: 9239FF07 00002400
	s_add_u32 m0, s56, s57                                     // 000000002B20: 807C3938
	buffer_load_dwordx4 v32, s[20:23], 0 offen lds             // 000000002B24: E05D1000 80050020
	s_add_i32 m0, m0, 0x3c0                                    // 000000002B2C: 817CFF7C 000003C0
	buffer_load_dwordx4 v32, s[20:23], 0 offen offset:64 lds   // 000000002B34: E05D1040 80050020
	s_add_i32 m0, m0, 0x3c0                                    // 000000002B3C: 817CFF7C 000003C0
	buffer_load_dwordx4 v32, s[20:23], 0 offen offset:128 lds  // 000000002B44: E05D1080 80050020
	s_add_i32 m0, m0, 0x3c0                                    // 000000002B4C: 817CFF7C 000003C0
	buffer_load_dwordx4 v32, s[20:23], 0 offen offset:192 lds  // 000000002B54: E05D10C0 80050020
	s_add_i32 m0, m0, 0x3c0                                    // 000000002B5C: 817CFF7C 000003C0
	buffer_load_dwordx4 v32, s[20:23], 0 offen offset:256 lds  // 000000002B64: E05D1100 80050020
	s_add_i32 m0, m0, 0x3c0                                    // 000000002B6C: 817CFF7C 000003C0
	buffer_load_dwordx4 v32, s[20:23], 0 offen offset:320 lds  // 000000002B74: E05D1140 80050020
	s_add_i32 m0, m0, 0x3c0                                    // 000000002B7C: 817CFF7C 000003C0
	buffer_load_dwordx4 v32, s[20:23], 0 offen offset:384 lds  // 000000002B84: E05D1180 80050020
	s_add_i32 m0, m0, 0x3c0                                    // 000000002B8C: 817CFF7C 000003C0
	buffer_load_dwordx4 v32, s[20:23], 0 offen offset:448 lds  // 000000002B94: E05D11C0 80050020
	s_add_i32 m0, m0, 0x3c0                                    // 000000002B9C: 817CFF7C 000003C0
	buffer_load_dwordx4 v32, s[20:23], 0 offen offset:512 lds  // 000000002BA4: E05D1200 80050020
	s_add_i32 m0, m0, 0x3c0                                    // 000000002BAC: 817CFF7C 000003C0
	buffer_load_dword v24, v26, s[24:27], 0 offen              // 000000002BB4: E0501000 8006181A
	v_add_u32_e32 v26, s73, v26                                // 000000002BBC: 68343449
	v_lshrrev_b32_e32 v28, 4, v0                               // 000000002BC0: 20380084
	v_lshlrev_b32_e32 v28, 2, v28                              // 000000002BC4: 24383882
	v_sub_u32_e32 v29, 12, v28                                 // 000000002BC8: 6A3A388C
	v_mov_b32_e32 v30, v29                                     // 000000002BCC: 7E3C031D
	s_nop 1                                                    // 000000002BD0: BF800001
	v_permlane16_swap_b32_e32 v29, v30                         // 000000002BD4: 7E3AB31E
	s_nop 1                                                    // 000000002BD8: BF800001
	v_permlane16_swap_b32_e32 v30, v29                         // 000000002BDC: 7E3CB31D
	s_mov_b32 s56, 0xff00ff00                                  // 000000002BE0: BEB800FF FF00FF00
	s_mov_b32 s57, 0xff00ff00                                  // 000000002BE8: BEB900FF FF00FF00
	v_cndmask_b32_e64 v30, v28, v29, s[56:57]                  // 000000002BF0: D100001E 00E23B1C
	v_and_b32_e32 v28, 15, v0                                  // 000000002BF8: 2638008F
	v_lshlrev_b32_e32 v28, 4, v28                              // 000000002BFC: 24383884
	v_add_u32_e32 v6, v28, v30                                 // 000000002C00: 680C3D1C
	v_lshlrev_b32_e32 v6, 2, v6                                // 000000002C04: 240C0C82
	s_mul_i32 s56, s7, 0x5000                                  // 000000002C08: 9238FF07 00005000
	v_add_u32_e32 v6, s56, v6                                  // 000000002C10: 680C0C38
	s_waitcnt vmcnt(10)                                        // 000000002C14: BF8C0F7A
	s_barrier                                                  // 000000002C18: BF8A0000
	ds_read_b128 a[0:3], v6                                    // 000000002C1C: DBFE0000 00000006
	ds_read_b128 a[4:7], v6 offset:1024                        // 000000002C24: DBFE0400 04000006
	ds_read_b128 a[8:11], v6 offset:2048                       // 000000002C2C: DBFE0800 08000006
	ds_read_b128 a[12:15], v6 offset:3072                      // 000000002C34: DBFE0C00 0C000006
	ds_read_b128 a[16:19], v6 offset:4096                      // 000000002C3C: DBFE1000 10000006
	ds_read_b128 a[20:23], v6 offset:5120                      // 000000002C44: DBFE1400 14000006
	ds_read_b128 a[24:27], v6 offset:6144                      // 000000002C4C: DBFE1800 18000006
	ds_read_b128 a[28:31], v6 offset:7168                      // 000000002C54: DBFE1C00 1C000006
	ds_read_b128 a[32:35], v6 offset:8192                      // 000000002C5C: DBFE2000 20000006
	ds_read_b128 a[36:39], v6 offset:9216                      // 000000002C64: DBFE2400 24000006
	ds_read_b128 a[40:43], v6 offset:10240                     // 000000002C6C: DBFE2800 28000006
	ds_read_b128 a[44:47], v6 offset:11264                     // 000000002C74: DBFE2C00 2C000006
	ds_read_b128 a[48:51], v6 offset:12288                     // 000000002C7C: DBFE3000 30000006
	ds_read_b128 a[52:55], v6 offset:13312                     // 000000002C84: DBFE3400 34000006
	ds_read_b128 a[56:59], v6 offset:14336                     // 000000002C8C: DBFE3800 38000006
	ds_read_b128 a[60:63], v6 offset:15360                     // 000000002C94: DBFE3C00 3C000006
	ds_read_b128 a[64:67], v6 offset:16384                     // 000000002C9C: DBFE4000 40000006
	ds_read_b128 a[68:71], v6 offset:17408                     // 000000002CA4: DBFE4400 44000006
	v_mov_b32_e32 v50, 0                                       // 000000002CAC: 7E640280
	v_mov_b32_e32 v51, 0                                       // 000000002CB0: 7E660280
	v_mov_b32_e32 v52, 0                                       // 000000002CB4: 7E680280
	v_mov_b32_e32 v53, 0                                       // 000000002CB8: 7E6A0280
	v_mov_b32_e32 v54, 0                                       // 000000002CBC: 7E6C0280
	v_mov_b32_e32 v55, 0                                       // 000000002CC0: 7E6E0280
	v_mov_b32_e32 v56, 0                                       // 000000002CC4: 7E700280
	v_mov_b32_e32 v57, 0                                       // 000000002CC8: 7E720280
	v_mov_b32_e32 v58, 0                                       // 000000002CCC: 7E740280
	v_mov_b32_e32 v59, 0                                       // 000000002CD0: 7E760280
	v_mov_b32_e32 v60, 0                                       // 000000002CD4: 7E780280
	v_mov_b32_e32 v61, 0                                       // 000000002CD8: 7E7A0280
	v_mov_b32_e32 v62, 0                                       // 000000002CDC: 7E7C0280
	v_mov_b32_e32 v63, 0                                       // 000000002CE0: 7E7E0280
	v_mov_b32_e32 v64, 0                                       // 000000002CE4: 7E800280
	v_mov_b32_e32 v65, 0                                       // 000000002CE8: 7E820280
	v_mov_b32_e32 v66, 0                                       // 000000002CEC: 7E840280
	v_mov_b32_e32 v67, 0                                       // 000000002CF0: 7E860280
	v_mov_b32_e32 v68, 0                                       // 000000002CF4: 7E880280
	v_mov_b32_e32 v69, 0                                       // 000000002CF8: 7E8A0280
	v_mov_b32_e32 v70, 0                                       // 000000002CFC: 7E8C0280
	v_mov_b32_e32 v71, 0                                       // 000000002D00: 7E8E0280
	v_mov_b32_e32 v72, 0                                       // 000000002D04: 7E900280
	v_mov_b32_e32 v73, 0                                       // 000000002D08: 7E920280
	v_mov_b32_e32 v74, 0                                       // 000000002D0C: 7E940280
	v_mov_b32_e32 v75, 0                                       // 000000002D10: 7E960280
	v_mov_b32_e32 v76, 0                                       // 000000002D14: 7E980280
	v_mov_b32_e32 v77, 0                                       // 000000002D18: 7E9A0280
	v_mov_b32_e32 v78, 0                                       // 000000002D1C: 7E9C0280
	v_mov_b32_e32 v79, 0                                       // 000000002D20: 7E9E0280
	v_mov_b32_e32 v80, 0                                       // 000000002D24: 7EA00280
	v_mov_b32_e32 v81, 0                                       // 000000002D28: 7EA20280
	v_mov_b32_e32 v82, 0                                       // 000000002D2C: 7EA40280
	v_mov_b32_e32 v83, 0                                       // 000000002D30: 7EA60280
	v_mov_b32_e32 v84, 0                                       // 000000002D34: 7EA80280
	v_mov_b32_e32 v85, 0                                       // 000000002D38: 7EAA0280
	v_mov_b32_e32 v86, 0                                       // 000000002D3C: 7EAC0280
	v_mov_b32_e32 v87, 0                                       // 000000002D40: 7EAE0280
	v_mov_b32_e32 v88, 0                                       // 000000002D44: 7EB00280
	v_mov_b32_e32 v89, 0                                       // 000000002D48: 7EB20280
	v_mov_b32_e32 v90, 0                                       // 000000002D4C: 7EB40280
	v_mov_b32_e32 v91, 0                                       // 000000002D50: 7EB60280
	v_mov_b32_e32 v92, 0                                       // 000000002D54: 7EB80280
	v_mov_b32_e32 v93, 0                                       // 000000002D58: 7EBA0280
	v_mov_b32_e32 v94, 0                                       // 000000002D5C: 7EBC0280
	v_mov_b32_e32 v95, 0                                       // 000000002D60: 7EBE0280
	v_mov_b32_e32 v96, 0                                       // 000000002D64: 7EC00280
	v_mov_b32_e32 v97, 0                                       // 000000002D68: 7EC20280
	v_mov_b32_e32 v98, 0                                       // 000000002D6C: 7EC40280
	v_mov_b32_e32 v99, 0                                       // 000000002D70: 7EC60280
	v_mov_b32_e32 v100, 0                                      // 000000002D74: 7EC80280
	v_mov_b32_e32 v101, 0                                      // 000000002D78: 7ECA0280
	v_mov_b32_e32 v102, 0                                      // 000000002D7C: 7ECC0280
	v_mov_b32_e32 v103, 0                                      // 000000002D80: 7ECE0280
	v_mov_b32_e32 v104, 0                                      // 000000002D84: 7ED00280
	v_mov_b32_e32 v105, 0                                      // 000000002D88: 7ED20280
	v_mov_b32_e32 v106, 0                                      // 000000002D8C: 7ED40280
	v_mov_b32_e32 v107, 0                                      // 000000002D90: 7ED60280
	v_mov_b32_e32 v108, 0                                      // 000000002D94: 7ED80280
	v_mov_b32_e32 v109, 0                                      // 000000002D98: 7EDA0280
	v_mov_b32_e32 v110, 0                                      // 000000002D9C: 7EDC0280
	v_mov_b32_e32 v111, 0                                      // 000000002DA0: 7EDE0280
	v_mov_b32_e32 v112, 0                                      // 000000002DA4: 7EE00280
	v_mov_b32_e32 v113, 0                                      // 000000002DA8: 7EE20280
	v_mov_b32_e32 v114, 0                                      // 000000002DAC: 7EE40280
	v_mov_b32_e32 v115, 0                                      // 000000002DB0: 7EE60280
	v_mov_b32_e32 v116, 0                                      // 000000002DB4: 7EE80280
	v_mov_b32_e32 v117, 0                                      // 000000002DB8: 7EEA0280
	v_mov_b32_e32 v118, 0                                      // 000000002DBC: 7EEC0280
	v_mov_b32_e32 v119, 0                                      // 000000002DC0: 7EEE0280
	v_mov_b32_e32 v120, 0                                      // 000000002DC4: 7EF00280
	v_mov_b32_e32 v121, 0                                      // 000000002DC8: 7EF20280
	v_mov_b32_e32 v122, 0                                      // 000000002DCC: 7EF40280
	v_mov_b32_e32 v123, 0                                      // 000000002DD0: 7EF60280
	v_mov_b32_e32 v124, 0                                      // 000000002DD4: 7EF80280
	v_mov_b32_e32 v125, 0                                      // 000000002DD8: 7EFA0280
	v_mov_b32_e32 v126, 0                                      // 000000002DDC: 7EFC0280
	v_mov_b32_e32 v127, 0                                      // 000000002DE0: 7EFE0280
	v_mov_b32_e32 v128, 0                                      // 000000002DE4: 7F000280
	v_mov_b32_e32 v129, 0                                      // 000000002DE8: 7F020280
	v_mov_b32_e32 v130, 0                                      // 000000002DEC: 7F040280
	v_mov_b32_e32 v131, 0                                      // 000000002DF0: 7F060280
	v_mov_b32_e32 v132, 0                                      // 000000002DF4: 7F080280
	v_mov_b32_e32 v133, 0                                      // 000000002DF8: 7F0A0280
	v_mov_b32_e32 v134, 0                                      // 000000002DFC: 7F0C0280
	v_mov_b32_e32 v135, 0                                      // 000000002E00: 7F0E0280
	v_mov_b32_e32 v136, 0                                      // 000000002E04: 7F100280
	v_mov_b32_e32 v137, 0                                      // 000000002E08: 7F120280
	v_mov_b32_e32 v138, 0                                      // 000000002E0C: 7F140280
	v_mov_b32_e32 v139, 0                                      // 000000002E10: 7F160280
	v_mov_b32_e32 v140, 0                                      // 000000002E14: 7F180280
	v_mov_b32_e32 v141, 0                                      // 000000002E18: 7F1A0280
	v_mov_b32_e32 v142, 0                                      // 000000002E1C: 7F1C0280
	v_mov_b32_e32 v143, 0                                      // 000000002E20: 7F1E0280
	v_mov_b32_e32 v144, 0                                      // 000000002E24: 7F200280
	v_mov_b32_e32 v145, 0                                      // 000000002E28: 7F220280
	v_mov_b32_e32 v146, 0                                      // 000000002E2C: 7F240280
	v_mov_b32_e32 v147, 0                                      // 000000002E30: 7F260280
	v_mov_b32_e32 v148, 0                                      // 000000002E34: 7F280280
	v_mov_b32_e32 v149, 0                                      // 000000002E38: 7F2A0280
	v_mov_b32_e32 v150, 0                                      // 000000002E3C: 7F2C0280
	v_mov_b32_e32 v151, 0                                      // 000000002E40: 7F2E0280
	v_mov_b32_e32 v152, 0                                      // 000000002E44: 7F300280
	v_mov_b32_e32 v153, 0                                      // 000000002E48: 7F320280
	v_mov_b32_e32 v154, 0                                      // 000000002E4C: 7F340280
	v_mov_b32_e32 v155, 0                                      // 000000002E50: 7F360280
	v_mov_b32_e32 v156, 0                                      // 000000002E54: 7F380280
	v_mov_b32_e32 v157, 0                                      // 000000002E58: 7F3A0280
	v_mov_b32_e32 v158, 0                                      // 000000002E5C: 7F3C0280
	v_mov_b32_e32 v159, 0                                      // 000000002E60: 7F3E0280
	v_mov_b32_e32 v160, 0                                      // 000000002E64: 7F400280
	v_mov_b32_e32 v161, 0                                      // 000000002E68: 7F420280
	v_mov_b32_e32 v162, 0                                      // 000000002E6C: 7F440280
	v_mov_b32_e32 v163, 0                                      // 000000002E70: 7F460280
	v_mov_b32_e32 v164, 0                                      // 000000002E74: 7F480280
	v_mov_b32_e32 v165, 0                                      // 000000002E78: 7F4A0280
	v_mov_b32_e32 v166, 0                                      // 000000002E7C: 7F4C0280
	v_mov_b32_e32 v167, 0                                      // 000000002E80: 7F4E0280
	v_mov_b32_e32 v168, 0                                      // 000000002E84: 7F500280
	v_mov_b32_e32 v169, 0                                      // 000000002E88: 7F520280
	v_mov_b32_e32 v170, 0                                      // 000000002E8C: 7F540280
	v_mov_b32_e32 v171, 0                                      // 000000002E90: 7F560280
	v_mov_b32_e32 v172, 0                                      // 000000002E94: 7F580280
	v_mov_b32_e32 v173, 0                                      // 000000002E98: 7F5A0280
	v_mov_b32_e32 v174, 0                                      // 000000002E9C: 7F5C0280
	v_mov_b32_e32 v175, 0                                      // 000000002EA0: 7F5E0280
	v_mov_b32_e32 v176, 0                                      // 000000002EA4: 7F600280
	v_mov_b32_e32 v177, 0                                      // 000000002EA8: 7F620280
	v_lshrrev_b32_e32 v28, 4, v0                               // 000000002EAC: 20380084
	v_lshlrev_b32_e32 v28, 2, v28                              // 000000002EB0: 24383882
	v_sub_u32_e32 v29, 12, v28                                 // 000000002EB4: 6A3A388C
	v_mov_b32_e32 v30, v29                                     // 000000002EB8: 7E3C031D
	s_nop 1                                                    // 000000002EBC: BF800001
	v_permlane16_swap_b32_e32 v29, v30                         // 000000002EC0: 7E3AB31E
	s_nop 1                                                    // 000000002EC4: BF800001
	v_permlane16_swap_b32_e32 v30, v29                         // 000000002EC8: 7E3CB31D
	s_mov_b32 s56, 0xff00ff00                                  // 000000002ECC: BEB800FF FF00FF00
	s_mov_b32 s57, 0xff00ff00                                  // 000000002ED4: BEB900FF FF00FF00
	v_cndmask_b32_e64 v30, v28, v29, s[56:57]                  // 000000002EDC: D100001E 00E23B1C
	v_and_b32_e32 v28, 15, v0                                  // 000000002EE4: 2638008F
	v_lshlrev_b32_e32 v28, 4, v28                              // 000000002EE8: 24383884
	v_add_u32_e32 v18, v28, v30                                // 000000002EEC: 68243D1C
	v_lshlrev_b32_e32 v19, 2, v18                              // 000000002EF0: 24262482
	s_mov_b32 s56, 0x2000                                      // 000000002EF4: BEB800FF 00002000
	v_add_u32_e32 v18, s56, v19                                // 000000002EFC: 68242638
	s_mov_b32 s57, 0x9000                                      // 000000002F00: BEB900FF 00009000
	v_add_u32_e32 v19, s57, v18                                // 000000002F08: 68262439
	v_add_u32_e32 v20, s57, v19                                // 000000002F0C: 68282639
	v_add_u32_e32 v21, s57, v20                                // 000000002F10: 682A2839
	v_and_b32_e32 v28, 15, v0                                  // 000000002F14: 2638008F
	v_lshrrev_b32_e32 v29, 2, v28                              // 000000002F18: 203A3882
	v_and_b32_e32 v30, 16, v0                                  // 000000002F1C: 263C0090
	v_lshrrev_b32_e32 v30, 1, v30                              // 000000002F20: 203C3C81
	v_add_u32_e32 v31, v30, v29                                // 000000002F24: 683E3B1E
	v_lshlrev_b32_e32 v31, 4, v31                              // 000000002F28: 243E3E84
	v_and_b32_e32 v29, 3, v0                                   // 000000002F2C: 263A0083
	v_lshlrev_b32_e32 v30, 1, v29                              // 000000002F30: 243C3A81
	v_add_u32_e32 v31, v31, v30                                // 000000002F34: 683E3D1F
	v_mov_b32_e32 v28, 0                                       // 000000002F38: 7E380280
	v_mov_b32_e32 v29, 8                                       // 000000002F3C: 7E3A0288
	s_mov_b32 s57, 0xffff0000                                  // 000000002F40: BEB900FF FFFF0000
	s_mov_b32 s56, 0xffff0000                                  // 000000002F48: BEB800FF FFFF0000
	v_cndmask_b32_e64 v50, v28, v29, s[56:57]                  // 000000002F50: D1000032 00E23B1C
	v_cndmask_b32_e64 v51, v29, v28, s[56:57]                  // 000000002F58: D1000033 00E2391D
	v_add_u32_e32 v8, v31, v50                                 // 000000002F60: 6810651F
	v_add_u32_e32 v9, v31, v51                                 // 000000002F64: 6812671F
	v_lshrrev_b32_e32 v28, 5, v0                               // 000000002F68: 20380085
	s_mov_b32 s57, 0x1200                                      // 000000002F6C: BEB900FF 00001200
	v_mul_i32_i24_e32 v28, s57, v28                            // 000000002F74: 0C383839
	v_add_u32_e32 v8, v8, v28                                  // 000000002F78: 68103908
	v_add_u32_e32 v9, v9, v28                                  // 000000002F7C: 68123909
	v_lshlrev_b32_e32 v8, 2, v8                                // 000000002F80: 24101082
	v_lshlrev_b32_e32 v9, 2, v9                                // 000000002F84: 24121282
	s_mov_b32 s56, 0x2000                                      // 000000002F88: BEB800FF 00002000
	v_add_u32_e32 v8, s56, v8                                  // 000000002F90: 68101038
	v_add_u32_e32 v9, s56, v9                                  // 000000002F94: 68121238
	s_mov_b32 s56, 0x9000                                      // 000000002F98: BEB800FF 00009000
	v_add_u32_e32 v10, s56, v8                                 // 000000002FA0: 68141038
	v_add_u32_e32 v11, s56, v9                                 // 000000002FA4: 68161238
	v_add_u32_e32 v12, s56, v10                                // 000000002FA8: 68181438
	v_add_u32_e32 v13, s56, v11                                // 000000002FAC: 681A1638
	v_add_u32_e32 v14, s56, v12                                // 000000002FB0: 681C1838
	v_add_u32_e32 v15, s56, v13                                // 000000002FB4: 681E1A38
	v_mul_u32_u24_e64 v32, v23, s68                            // 000000002FB8: D1080020 00008917
	v_add_u32_e32 v32, v32, v1                                 // 000000002FC0: 68400320
	s_mov_b32 s56, 0x1d000                                     // 000000002FC4: BEB800FF 0001D000
	s_mul_i32 s57, s7, 0x2400                                  // 000000002FCC: 9239FF07 00002400
	s_add_u32 m0, s56, s57                                     // 000000002FD4: 807C3938
	buffer_load_dwordx4 v32, s[20:23], 0 offen lds             // 000000002FD8: E05D1000 80050020
	s_add_i32 m0, m0, 0x3c0                                    // 000000002FE0: 817CFF7C 000003C0
	buffer_load_dwordx4 v32, s[20:23], 0 offen offset:64 lds   // 000000002FE8: E05D1040 80050020
	s_add_i32 m0, m0, 0x3c0                                    // 000000002FF0: 817CFF7C 000003C0
	buffer_load_dwordx4 v32, s[20:23], 0 offen offset:128 lds  // 000000002FF8: E05D1080 80050020
	s_add_i32 m0, m0, 0x3c0                                    // 000000003000: 817CFF7C 000003C0
	buffer_load_dwordx4 v32, s[20:23], 0 offen offset:192 lds  // 000000003008: E05D10C0 80050020
	s_add_i32 m0, m0, 0x3c0                                    // 000000003010: 817CFF7C 000003C0
	buffer_load_dwordx4 v32, s[20:23], 0 offen offset:256 lds  // 000000003018: E05D1100 80050020
	s_add_i32 m0, m0, 0x3c0                                    // 000000003020: 817CFF7C 000003C0
	buffer_load_dwordx4 v32, s[20:23], 0 offen offset:320 lds  // 000000003028: E05D1140 80050020
	s_add_i32 m0, m0, 0x3c0                                    // 000000003030: 817CFF7C 000003C0
	buffer_load_dwordx4 v32, s[20:23], 0 offen offset:384 lds  // 000000003038: E05D1180 80050020
	s_add_i32 m0, m0, 0x3c0                                    // 000000003040: 817CFF7C 000003C0
	buffer_load_dwordx4 v32, s[20:23], 0 offen offset:448 lds  // 000000003048: E05D11C0 80050020
	s_add_i32 m0, m0, 0x3c0                                    // 000000003050: 817CFF7C 000003C0
	buffer_load_dwordx4 v32, s[20:23], 0 offen offset:512 lds  // 000000003058: E05D1200 80050020
	s_add_i32 m0, m0, 0x3c0                                    // 000000003060: 817CFF7C 000003C0
	buffer_load_dword v25, v26, s[24:27], 0 offen              // 000000003068: E0501000 8006191A
	v_add_u32_e32 v26, s73, v26                                // 000000003070: 68343449
	s_waitcnt vmcnt(10)                                        // 000000003074: BF8C0F7A
	s_barrier                                                  // 000000003078: BF8A0000
	s_waitcnt lgkmcnt(0)                                       // 00000000307C: BF8CC07F
	ds_read_b128 a[72:75], v20                                 // 000000003080: DBFE0000 48000014
	ds_read_b128 a[76:79], v20 offset:1024                     // 000000003088: DBFE0400 4C000014
	ds_read_b128 a[80:83], v20 offset:2048                     // 000000003090: DBFE0800 50000014
	ds_read_b128 a[84:87], v20 offset:3072                     // 000000003098: DBFE0C00 54000014
	ds_read_b128 a[88:91], v20 offset:4096                     // 0000000030A0: DBFE1000 58000014
	ds_read_b128 a[92:95], v20 offset:5120                     // 0000000030A8: DBFE1400 5C000014
	ds_read_b128 a[96:99], v20 offset:6144                     // 0000000030B0: DBFE1800 60000014
	ds_read_b128 a[100:103], v20 offset:7168                   // 0000000030B8: DBFE1C00 64000014
	ds_read_b128 a[104:107], v20 offset:8192                   // 0000000030C0: DBFE2000 68000014
	ds_read_b128 a[108:111], v20 offset:9216                   // 0000000030C8: DBFE2400 6C000014
	ds_read_b128 a[112:115], v20 offset:10240                  // 0000000030D0: DBFE2800 70000014
	ds_read_b128 a[116:119], v20 offset:11264                  // 0000000030D8: DBFE2C00 74000014
	ds_read_b128 a[120:123], v20 offset:12288                  // 0000000030E0: DBFE3000 78000014
	ds_read_b128 a[124:127], v20 offset:13312                  // 0000000030E8: DBFE3400 7C000014
	ds_read_b128 a[128:131], v20 offset:14336                  // 0000000030F0: DBFE3800 80000014
	ds_read_b128 a[132:135], v20 offset:15360                  // 0000000030F8: DBFE3C00 84000014
	ds_read_b128 a[136:139], v20 offset:16384                  // 000000003100: DBFE4000 88000014
	ds_read_b128 a[140:143], v20 offset:17408                  // 000000003108: DBFE4400 8C000014
	s_cmp_lt_u32 s71, 1                                        // 000000003110: BF0A8147
	s_cbranch_scc1 label_86CC                                  // 000000003114: BF851EAD
	s_waitcnt lgkmcnt(4)                                       // 000000003118: BF8CC47F
	v_mfma_f32_16x16x32_bf16 v[34:37], a[72:75], a[0:3], 0     // 00000000311C: D3B50022 1A020148
	v_mul_u32_u24_e64 v32, v24, s68                            // 000000003124: D1080020 00008918
	v_add_u32_e32 v32, v32, v1                                 // 00000000312C: 68400320
	buffer_load_dword v22, v26, s[24:27], 0 offen              // 000000003130: E0501000 8006161A
	v_mfma_f32_16x16x32_bf16 v[34:37], a[76:79], a[4:7], v[34:37]// 000000003138: D3B50022 1C8A094C
	s_mov_b32 s56, 0x2000                                      // 000000003140: BEB800FF 00002000
	s_mul_i32 s57, s7, 0x2400                                  // 000000003148: 9239FF07 00002400
	s_add_u32 m0, s56, s57                                     // 000000003150: 807C3938
	buffer_load_dwordx4 v32, s[20:23], 0 offen lds             // 000000003154: E05D1000 80050020
	s_add_i32 m0, m0, 0x3c0                                    // 00000000315C: 817CFF7C 000003C0
	v_mfma_f32_16x16x32_bf16 v[34:37], a[80:83], a[8:11], v[34:37]// 000000003164: D3B50022 1C8A1150
	buffer_load_dwordx4 v32, s[20:23], 0 offen offset:64 lds   // 00000000316C: E05D1040 80050020
	s_add_i32 m0, m0, 0x3c0                                    // 000000003174: 817CFF7C 000003C0
	v_mfma_f32_16x16x32_bf16 v[34:37], a[84:87], a[12:15], v[34:37]// 00000000317C: D3B50022 1C8A1954
	buffer_load_dwordx4 v32, s[20:23], 0 offen offset:128 lds  // 000000003184: E05D1080 80050020
	s_add_i32 m0, m0, 0x3c0                                    // 00000000318C: 817CFF7C 000003C0
	v_mfma_f32_16x16x32_bf16 v[34:37], a[88:91], a[16:19], v[34:37]// 000000003194: D3B50022 1C8A2158
	buffer_load_dwordx4 v32, s[20:23], 0 offen offset:192 lds  // 00000000319C: E05D10C0 80050020
	s_add_i32 m0, m0, 0x3c0                                    // 0000000031A4: 817CFF7C 000003C0
	v_mfma_f32_16x16x32_bf16 v[34:37], a[92:95], a[20:23], v[34:37]// 0000000031AC: D3B50022 1C8A295C
	buffer_load_dwordx4 v32, s[20:23], 0 offen offset:256 lds  // 0000000031B4: E05D1100 80050020
	s_add_i32 m0, m0, 0x3c0                                    // 0000000031BC: 817CFF7C 000003C0
	v_mfma_f32_16x16x32_bf16 v[34:37], a[96:99], a[24:27], v[34:37]// 0000000031C4: D3B50022 1C8A3160
	buffer_load_dwordx4 v32, s[20:23], 0 offen offset:320 lds  // 0000000031CC: E05D1140 80050020
	s_add_i32 m0, m0, 0x3c0                                    // 0000000031D4: 817CFF7C 000003C0
	v_mfma_f32_16x16x32_bf16 v[34:37], a[100:103], a[28:31], v[34:37]// 0000000031DC: D3B50022 1C8A3964
	buffer_load_dwordx4 v32, s[20:23], 0 offen offset:384 lds  // 0000000031E4: E05D1180 80050020
	s_add_i32 m0, m0, 0x3c0                                    // 0000000031EC: 817CFF7C 000003C0
	v_mfma_f32_16x16x32_bf16 v[34:37], a[104:107], a[32:35], v[34:37]// 0000000031F4: D3B50022 1C8A4168
	buffer_load_dwordx4 v32, s[20:23], 0 offen offset:448 lds  // 0000000031FC: E05D11C0 80050020
	s_add_i32 m0, m0, 0x3c0                                    // 000000003204: 817CFF7C 000003C0
	v_mfma_f32_16x16x32_bf16 v[34:37], a[108:111], a[36:39], v[34:37]// 00000000320C: D3B50022 1C8A496C
	buffer_load_dwordx4 v32, s[20:23], 0 offen offset:512 lds  // 000000003214: E05D1200 80050020
	s_add_i32 m0, m0, 0x3c0                                    // 00000000321C: 817CFF7C 000003C0
	v_mfma_f32_16x16x32_bf16 v[34:37], a[112:115], a[40:43], v[34:37]// 000000003224: D3B50022 1C8A5170
	ds_read_b128 a[72:75], v20 offset:18432                    // 00000000322C: DBFE4800 48000014
	ds_read_b128 a[76:79], v20 offset:19456                    // 000000003234: DBFE4C00 4C000014
	v_mfma_f32_16x16x32_bf16 v[34:37], a[116:119], a[44:47], v[34:37]// 00000000323C: D3B50022 1C8A5974
	ds_read_b128 a[80:83], v20 offset:20480                    // 000000003244: DBFE5000 50000014
	ds_read_b128 a[84:87], v20 offset:21504                    // 00000000324C: DBFE5400 54000014
	v_mfma_f32_16x16x32_bf16 v[34:37], a[120:123], a[48:51], v[34:37]// 000000003254: D3B50022 1C8A6178
	ds_read_b128 a[88:91], v20 offset:22528                    // 00000000325C: DBFE5800 58000014
	ds_read_b128 a[92:95], v20 offset:23552                    // 000000003264: DBFE5C00 5C000014
	v_mfma_f32_16x16x32_bf16 v[34:37], a[124:127], a[52:55], v[34:37]// 00000000326C: D3B50022 1C8A697C
	ds_read_b128 a[96:99], v20 offset:24576                    // 000000003274: DBFE6000 60000014
	ds_read_b128 a[100:103], v20 offset:25600                  // 00000000327C: DBFE6400 64000014
	v_mfma_f32_16x16x32_bf16 v[34:37], a[128:131], a[56:59], v[34:37]// 000000003284: D3B50022 1C8A7180
	ds_read_b128 a[104:107], v20 offset:26624                  // 00000000328C: DBFE6800 68000014
	ds_read_b128 a[108:111], v20 offset:27648                  // 000000003294: DBFE6C00 6C000014
	v_mfma_f32_16x16x32_bf16 v[34:37], a[132:135], a[60:63], v[34:37]// 00000000329C: D3B50022 1C8A7984
	ds_read_b128 a[112:115], v20 offset:28672                  // 0000000032A4: DBFE7000 70000014
	ds_read_b128 a[116:119], v20 offset:29696                  // 0000000032AC: DBFE7400 74000014
	v_mfma_f32_16x16x32_bf16 v[34:37], a[136:139], a[64:67], v[34:37]// 0000000032B4: D3B50022 1C8A8188
	ds_read_b128 a[120:123], v20 offset:30720                  // 0000000032BC: DBFE7800 78000014
	ds_read_b128 a[124:127], v20 offset:31744                  // 0000000032C4: DBFE7C00 7C000014
	v_mfma_f32_16x16x32_bf16 v[34:37], a[140:143], a[68:71], v[34:37]// 0000000032CC: D3B50022 1C8A898C
	ds_read_b128 a[128:131], v20 offset:32768                  // 0000000032D4: DBFE8000 80000014
	ds_read_b128 a[132:135], v20 offset:33792                  // 0000000032DC: DBFE8400 84000014
	ds_read_b128 a[136:139], v20 offset:34816                  // 0000000032E4: DBFE8800 88000014
	ds_read_b128 a[140:143], v20 offset:35840                  // 0000000032EC: DBFE8C00 8C000014
	v_add_u32_e32 v26, s73, v26                                // 0000000032F4: 68343449
	s_waitcnt lgkmcnt(4)                                       // 0000000032F8: BF8CC47F
	v_mfma_f32_16x16x32_bf16 v[38:41], a[72:75], a[0:3], 0     // 0000000032FC: D3B50026 1A020148
	v_mfma_f32_16x16x32_bf16 v[38:41], a[76:79], a[4:7], v[38:41]// 000000003304: D3B50026 1C9A094C
	v_mfma_f32_16x16x32_bf16 v[38:41], a[80:83], a[8:11], v[38:41]// 00000000330C: D3B50026 1C9A1150
	v_mfma_f32_16x16x32_bf16 v[38:41], a[84:87], a[12:15], v[38:41]// 000000003314: D3B50026 1C9A1954
	v_mfma_f32_16x16x32_bf16 v[38:41], a[88:91], a[16:19], v[38:41]// 00000000331C: D3B50026 1C9A2158
	v_mfma_f32_16x16x32_bf16 v[38:41], a[92:95], a[20:23], v[38:41]// 000000003324: D3B50026 1C9A295C
	s_waitcnt vmcnt(10)                                        // 00000000332C: BF8C0F7A
	s_barrier                                                  // 000000003330: BF8A0000
	v_mfma_f32_16x16x32_bf16 v[38:41], a[96:99], a[24:27], v[38:41]// 000000003334: D3B50026 1C9A3160
	v_mfma_f32_16x16x32_bf16 v[38:41], a[100:103], a[28:31], v[38:41]// 00000000333C: D3B50026 1C9A3964
	ds_read_b128 a[72:75], v21                                 // 000000003344: DBFE0000 48000015
	v_mfma_f32_16x16x32_bf16 v[38:41], a[104:107], a[32:35], v[38:41]// 00000000334C: D3B50026 1C9A4168
	v_mfma_f32_16x16x32_bf16 v[38:41], a[108:111], a[36:39], v[38:41]// 000000003354: D3B50026 1C9A496C
	ds_read_b128 a[76:79], v21 offset:1024                     // 00000000335C: DBFE0400 4C000015
	v_mfma_f32_16x16x32_bf16 v[38:41], a[112:115], a[40:43], v[38:41]// 000000003364: D3B50026 1C9A5170
	v_mfma_f32_16x16x32_bf16 v[38:41], a[116:119], a[44:47], v[38:41]// 00000000336C: D3B50026 1C9A5974
	ds_read_b128 a[80:83], v21 offset:2048                     // 000000003374: DBFE0800 50000015
	v_mfma_f32_16x16x32_bf16 v[38:41], a[120:123], a[48:51], v[38:41]// 00000000337C: D3B50026 1C9A6178
	v_mfma_f32_16x16x32_bf16 v[38:41], a[124:127], a[52:55], v[38:41]// 000000003384: D3B50026 1C9A697C
	ds_read_b128 a[84:87], v21 offset:3072                     // 00000000338C: DBFE0C00 54000015
	v_mfma_f32_16x16x32_bf16 v[38:41], a[128:131], a[56:59], v[38:41]// 000000003394: D3B50026 1C9A7180
	v_mfma_f32_16x16x32_bf16 v[38:41], a[132:135], a[60:63], v[38:41]// 00000000339C: D3B50026 1C9A7984
	ds_read_b128 a[88:91], v21 offset:4096                     // 0000000033A4: DBFE1000 58000015
	v_mfma_f32_16x16x32_bf16 v[38:41], a[136:139], a[64:67], v[38:41]// 0000000033AC: D3B50026 1C9A8188
	v_mfma_f32_16x16x32_bf16 v[38:41], a[140:143], a[68:71], v[38:41]// 0000000033B4: D3B50026 1C9A898C
	ds_read_b128 a[92:95], v21 offset:5120                     // 0000000033BC: DBFE1400 5C000015
	ds_read_b128 a[96:99], v21 offset:6144                     // 0000000033C4: DBFE1800 60000015
	ds_read_b128 a[100:103], v21 offset:7168                   // 0000000033CC: DBFE1C00 64000015
	ds_read_b128 a[104:107], v21 offset:8192                   // 0000000033D4: DBFE2000 68000015
	ds_read_b128 a[108:111], v21 offset:9216                   // 0000000033DC: DBFE2400 6C000015
	ds_read_b128 a[112:115], v21 offset:10240                  // 0000000033E4: DBFE2800 70000015
	ds_read_b128 a[116:119], v21 offset:11264                  // 0000000033EC: DBFE2C00 74000015
	ds_read_b128 a[120:123], v21 offset:12288                  // 0000000033F4: DBFE3000 78000015
	ds_read_b128 a[124:127], v21 offset:13312                  // 0000000033FC: DBFE3400 7C000015
	ds_read_b128 a[128:131], v21 offset:14336                  // 000000003404: DBFE3800 80000015
	ds_read_b128 a[132:135], v21 offset:15360                  // 00000000340C: DBFE3C00 84000015
	ds_read_b128 a[136:139], v21 offset:16384                  // 000000003414: DBFE4000 88000015
	ds_read_b128 a[140:143], v21 offset:17408                  // 00000000341C: DBFE4400 8C000015
	s_nop 2                                                    // 000000003424: BF800002
	v_mov_b32_e32 v29, v34                                     // 000000003428: 7E3A0322
	v_max3_f32 v29, v34, v35, v29                              // 00000000342C: D1D3001D 04764722
	v_max3_f32 v29, v36, v37, v29                              // 000000003434: D1D3001D 04764B24
	v_max3_f32 v29, v38, v39, v29                              // 00000000343C: D1D3001D 04764F26
	v_max3_f32 v29, v40, v41, v29                              // 000000003444: D1D3001D 04765328
	v_mov_b32_e32 v28, v29                                     // 00000000344C: 7E38031D
	v_mov_b32_e32 v29, v29                                     // 000000003450: 7E3A031D
	s_nop 1                                                    // 000000003454: BF800001
	v_permlane16_swap_b32_e32 v28, v29                         // 000000003458: 7E38B31D
	v_mov_b32_e32 v31, v28                                     // 00000000345C: 7E3E031C
	v_mov_b32_e32 v30, v29                                     // 000000003460: 7E3C031D
	s_nop 1                                                    // 000000003464: BF800001
	v_permlane32_swap_b32_e32 v28, v29                         // 000000003468: 7E38B51D
	v_permlane32_swap_b32_e32 v30, v31                         // 00000000346C: 7E3CB51F
	v_max3_f32 v29, v28, v29, v29                              // 000000003470: D1D3001D 04763B1C
	v_max3_f32 v29, v30, v31, v29                              // 000000003478: D1D3001D 04763F1E
	v_mov_b32_e32 v28, 0xff800000                              // 000000003480: 7E3802FF FF800000
	v_cmp_eq_u32_e64 s[36:37], v28, v2                         // 000000003488: D0CA0024 0002051C
	v_max_f32_e32 v29, v29, v2                                 // 000000003490: 163A051D
	v_sub_f32_e32 v16, v2, v29                                 // 000000003494: 04203B02
	v_cndmask_b32_e64 v16, v16, 0, s[36:37]                    // 000000003498: D1000010 00910110
	v_mov_b32_e32 v2, v29                                      // 0000000034A0: 7E04031D
	v_mul_f32_e32 v29, s5, v29                                 // 0000000034A4: 0A3A3A05
	v_mul_f32_e32 v16, s5, v16                                 // 0000000034A8: 0A202005
	v_exp_f32_e32 v16, v16                                     // 0000000034AC: 7E204110
	v_fma_f32 v34, v34, s5, -v29                               // 0000000034B0: D1CB0022 84740B22
	v_fma_f32 v35, v35, s5, -v29                               // 0000000034B8: D1CB0023 84740B23
	v_fma_f32 v36, v36, s5, -v29                               // 0000000034C0: D1CB0024 84740B24
	v_fma_f32 v37, v37, s5, -v29                               // 0000000034C8: D1CB0025 84740B25
	v_fma_f32 v38, v38, s5, -v29                               // 0000000034D0: D1CB0026 84740B26
	v_fma_f32 v39, v39, s5, -v29                               // 0000000034D8: D1CB0027 84740B27
	v_fma_f32 v40, v40, s5, -v29                               // 0000000034E0: D1CB0028 84740B28
	v_fma_f32 v41, v41, s5, -v29                               // 0000000034E8: D1CB0029 84740B29
	v_exp_f32_e32 v34, v34                                     // 0000000034F0: 7E444122
	v_exp_f32_e32 v35, v35                                     // 0000000034F4: 7E464123
	v_exp_f32_e32 v36, v36                                     // 0000000034F8: 7E484124
	v_exp_f32_e32 v37, v37                                     // 0000000034FC: 7E4A4125
	v_exp_f32_e32 v38, v38                                     // 000000003500: 7E4C4126
	v_exp_f32_e32 v39, v39                                     // 000000003504: 7E4E4127
	v_exp_f32_e32 v40, v40                                     // 000000003508: 7E504128
	v_exp_f32_e32 v41, v41                                     // 00000000350C: 7E524129
	v_mul_f32_e32 v4, v16, v4                                  // 000000003510: 0A080910
	v_mov_b32_e32 v28, v34                                     // 000000003514: 7E380322
	v_add_f32_e32 v28, v35, v28                                // 000000003518: 02383923
	v_add_f32_e32 v28, v36, v28                                // 00000000351C: 02383924
	v_add_f32_e32 v28, v37, v28                                // 000000003520: 02383925
	v_add_f32_e32 v28, v38, v28                                // 000000003524: 02383926
	;; [unrolled: 1-line block ×3, first 2 shown]
	v_add_f32_e32 v28, v40, v28                                // 00000000352C: 02383928
	v_add_f32_e32 v28, v41, v28                                // 000000003530: 02383929
	v_add_f32_e32 v4, v28, v4                                  // 000000003534: 0208091C
	v_cvt_pk_bf16_f32 v34, v34, v35                            // 000000003538: D2680022 00024722
	v_cvt_pk_bf16_f32 v35, v36, v37                            // 000000003540: D2680023 00024B24
	v_cvt_pk_bf16_f32 v36, v38, v39                            // 000000003548: D2680024 00024F26
	v_cvt_pk_bf16_f32 v37, v40, v41                            // 000000003550: D2680025 00025328
	s_nop 0                                                    // 000000003558: BF800000
	v_permlane32_swap_b32_e32 v34, v36                         // 00000000355C: 7E44B524
	v_permlane32_swap_b32_e32 v35, v37                         // 000000003560: 7E46B525
	s_nop 0                                                    // 000000003564: BF800000
	v_permlane16_swap_b32_e32 v34, v36                         // 000000003568: 7E44B324
	v_permlane16_swap_b32_e32 v35, v37                         // 00000000356C: 7E46B325
	s_addk_i32 s70, 0x1                                        // 000000003570: B7460001
	s_cmp_eq_u32 s71, s70                                      // 000000003574: BF064647
	s_cbranch_scc1 label_5F98                                  // 000000003578: BF8513C7
	s_waitcnt lgkmcnt(4)                                       // 00000000357C: BF8CC47F
	v_mfma_f32_16x16x32_bf16 v[42:45], a[72:75], a[0:3], 0     // 000000003580: D3B5002A 1A020148
	v_mul_u32_u24_e64 v32, v25, s68                            // 000000003588: D1080020 00008919
	v_add_u32_e32 v32, v32, v1                                 // 000000003590: 68400320
	buffer_load_dword v23, v26, s[24:27], 0 offen              // 000000003594: E0501000 8006171A
	v_mfma_f32_16x16x32_bf16 v[42:45], a[76:79], a[4:7], v[42:45]// 00000000359C: D3B5002A 1CAA094C
	s_mov_b32 s56, 0xb000                                      // 0000000035A4: BEB800FF 0000B000
	s_mul_i32 s57, s7, 0x2400                                  // 0000000035AC: 9239FF07 00002400
	s_add_u32 m0, s56, s57                                     // 0000000035B4: 807C3938
	buffer_load_dwordx4 v32, s[20:23], 0 offen lds             // 0000000035B8: E05D1000 80050020
	s_add_i32 m0, m0, 0x3c0                                    // 0000000035C0: 817CFF7C 000003C0
	v_mfma_f32_16x16x32_bf16 v[42:45], a[80:83], a[8:11], v[42:45]// 0000000035C8: D3B5002A 1CAA1150
	v_mfma_f32_16x16x32_bf16 v[42:45], a[84:87], a[12:15], v[42:45]// 0000000035D0: D3B5002A 1CAA1954
	buffer_load_dwordx4 v32, s[20:23], 0 offen offset:64 lds   // 0000000035D8: E05D1040 80050020
	s_add_i32 m0, m0, 0x3c0                                    // 0000000035E0: 817CFF7C 000003C0
	v_mfma_f32_16x16x32_bf16 v[42:45], a[88:91], a[16:19], v[42:45]// 0000000035E8: D3B5002A 1CAA2158
	ds_read_b128 a[72:75], v21 offset:18432                    // 0000000035F0: DBFE4800 48000015
	v_mfma_f32_16x16x32_bf16 v[42:45], a[92:95], a[20:23], v[42:45]// 0000000035F8: D3B5002A 1CAA295C
	buffer_load_dwordx4 v32, s[20:23], 0 offen offset:128 lds  // 000000003600: E05D1080 80050020
	s_add_i32 m0, m0, 0x3c0                                    // 000000003608: 817CFF7C 000003C0
	v_mfma_f32_16x16x32_bf16 v[42:45], a[96:99], a[24:27], v[42:45]// 000000003610: D3B5002A 1CAA3160
	ds_read_b128 a[76:79], v21 offset:19456                    // 000000003618: DBFE4C00 4C000015
	v_mfma_f32_16x16x32_bf16 v[42:45], a[100:103], a[28:31], v[42:45]// 000000003620: D3B5002A 1CAA3964
	buffer_load_dwordx4 v32, s[20:23], 0 offen offset:192 lds  // 000000003628: E05D10C0 80050020
	s_add_i32 m0, m0, 0x3c0                                    // 000000003630: 817CFF7C 000003C0
	v_mfma_f32_16x16x32_bf16 v[42:45], a[104:107], a[32:35], v[42:45]// 000000003638: D3B5002A 1CAA4168
	ds_read_b128 a[80:83], v21 offset:20480                    // 000000003640: DBFE5000 50000015
	v_mfma_f32_16x16x32_bf16 v[42:45], a[108:111], a[36:39], v[42:45]// 000000003648: D3B5002A 1CAA496C
	buffer_load_dwordx4 v32, s[20:23], 0 offen offset:256 lds  // 000000003650: E05D1100 80050020
	s_add_i32 m0, m0, 0x3c0                                    // 000000003658: 817CFF7C 000003C0
	v_mfma_f32_16x16x32_bf16 v[42:45], a[112:115], a[40:43], v[42:45]// 000000003660: D3B5002A 1CAA5170
	ds_read_b128 a[84:87], v21 offset:21504                    // 000000003668: DBFE5400 54000015
	v_mfma_f32_16x16x32_bf16 v[42:45], a[116:119], a[44:47], v[42:45]// 000000003670: D3B5002A 1CAA5974
	buffer_load_dwordx4 v32, s[20:23], 0 offen offset:320 lds  // 000000003678: E05D1140 80050020
	s_add_i32 m0, m0, 0x3c0                                    // 000000003680: 817CFF7C 000003C0
	v_mfma_f32_16x16x32_bf16 v[42:45], a[120:123], a[48:51], v[42:45]// 000000003688: D3B5002A 1CAA6178
	ds_read_b128 a[88:91], v21 offset:22528                    // 000000003690: DBFE5800 58000015
	v_mfma_f32_16x16x32_bf16 v[42:45], a[124:127], a[52:55], v[42:45]// 000000003698: D3B5002A 1CAA697C
	buffer_load_dwordx4 v32, s[20:23], 0 offen offset:384 lds  // 0000000036A0: E05D1180 80050020
	s_add_i32 m0, m0, 0x3c0                                    // 0000000036A8: 817CFF7C 000003C0
	v_mfma_f32_16x16x32_bf16 v[42:45], a[128:131], a[56:59], v[42:45]// 0000000036B0: D3B5002A 1CAA7180
	ds_read_b128 a[92:95], v21 offset:23552                    // 0000000036B8: DBFE5C00 5C000015
	v_mfma_f32_16x16x32_bf16 v[42:45], a[132:135], a[60:63], v[42:45]// 0000000036C0: D3B5002A 1CAA7984
	buffer_load_dwordx4 v32, s[20:23], 0 offen offset:448 lds  // 0000000036C8: E05D11C0 80050020
	s_add_i32 m0, m0, 0x3c0                                    // 0000000036D0: 817CFF7C 000003C0
	v_mfma_f32_16x16x32_bf16 v[42:45], a[136:139], a[64:67], v[42:45]// 0000000036D8: D3B5002A 1CAA8188
	ds_read_b128 a[96:99], v21 offset:24576                    // 0000000036E0: DBFE6000 60000015
	v_mfma_f32_16x16x32_bf16 v[42:45], a[140:143], a[68:71], v[42:45]// 0000000036E8: D3B5002A 1CAA898C
	buffer_load_dwordx4 v32, s[20:23], 0 offen offset:512 lds  // 0000000036F0: E05D1200 80050020
	s_add_i32 m0, m0, 0x3c0                                    // 0000000036F8: 817CFF7C 000003C0
	ds_read_b128 a[100:103], v21 offset:25600                  // 000000003700: DBFE6400 64000015
	ds_read_b128 a[104:107], v21 offset:26624                  // 000000003708: DBFE6800 68000015
	ds_read_b128 a[108:111], v21 offset:27648                  // 000000003710: DBFE6C00 6C000015
	ds_read_b128 a[112:115], v21 offset:28672                  // 000000003718: DBFE7000 70000015
	ds_read_b128 a[116:119], v21 offset:29696                  // 000000003720: DBFE7400 74000015
	ds_read_b128 a[120:123], v21 offset:30720                  // 000000003728: DBFE7800 78000015
	ds_read_b128 a[124:127], v21 offset:31744                  // 000000003730: DBFE7C00 7C000015
	ds_read_b128 a[128:131], v21 offset:32768                  // 000000003738: DBFE8000 80000015
	ds_read_b128 a[132:135], v21 offset:33792                  // 000000003740: DBFE8400 84000015
	ds_read_b128 a[136:139], v21 offset:34816                  // 000000003748: DBFE8800 88000015
	ds_read_b128 a[140:143], v21 offset:35840                  // 000000003750: DBFE8C00 8C000015
	v_add_u32_e32 v26, s73, v26                                // 000000003758: 68343449
	s_waitcnt lgkmcnt(4)                                       // 00000000375C: BF8CC47F
	v_mfma_f32_16x16x32_bf16 v[46:49], a[72:75], a[0:3], 0     // 000000003760: D3B5002E 1A020148
	ds_read_b64_tr_b16 a[144:145], v12                         // 000000003768: DBC60000 9000000C
	ds_read_b64_tr_b16 a[146:147], v12 offset:256              // 000000003770: DBC60100 9200000C
	ds_read_b64_tr_b16 a[148:149], v13                         // 000000003778: DBC60000 9400000D
	ds_read_b64_tr_b16 a[150:151], v13 offset:256              // 000000003780: DBC60100 9600000D
	v_mfma_f32_16x16x32_bf16 v[46:49], a[76:79], a[4:7], v[46:49]// 000000003788: D3B5002E 1CBA094C
	v_mfma_f32_16x16x32_bf16 v[46:49], a[80:83], a[8:11], v[46:49]// 000000003790: D3B5002E 1CBA1150
	ds_read_b64_tr_b16 a[152:153], v12 offset:1024             // 000000003798: DBC60400 9800000C
	ds_read_b64_tr_b16 a[154:155], v12 offset:1280             // 0000000037A0: DBC60500 9A00000C
	ds_read_b64_tr_b16 a[156:157], v13 offset:1024             // 0000000037A8: DBC60400 9C00000D
	ds_read_b64_tr_b16 a[158:159], v13 offset:1280             // 0000000037B0: DBC60500 9E00000D
	v_mfma_f32_16x16x32_bf16 v[46:49], a[84:87], a[12:15], v[46:49]// 0000000037B8: D3B5002E 1CBA1954
	v_mfma_f32_16x16x32_bf16 v[46:49], a[88:91], a[16:19], v[46:49]// 0000000037C0: D3B5002E 1CBA2158
	ds_read_b64_tr_b16 a[160:161], v12 offset:2048             // 0000000037C8: DBC60800 A000000C
	ds_read_b64_tr_b16 a[162:163], v12 offset:2304             // 0000000037D0: DBC60900 A200000C
	ds_read_b64_tr_b16 a[164:165], v13 offset:2048             // 0000000037D8: DBC60800 A400000D
	ds_read_b64_tr_b16 a[166:167], v13 offset:2304             // 0000000037E0: DBC60900 A600000D
	v_mfma_f32_16x16x32_bf16 v[46:49], a[92:95], a[20:23], v[46:49]// 0000000037E8: D3B5002E 1CBA295C
	v_mfma_f32_16x16x32_bf16 v[46:49], a[96:99], a[24:27], v[46:49]// 0000000037F0: D3B5002E 1CBA3160
	ds_read_b64_tr_b16 a[168:169], v12 offset:3072             // 0000000037F8: DBC60C00 A800000C
	ds_read_b64_tr_b16 a[170:171], v12 offset:3328             // 000000003800: DBC60D00 AA00000C
	ds_read_b64_tr_b16 a[172:173], v13 offset:3072             // 000000003808: DBC60C00 AC00000D
	ds_read_b64_tr_b16 a[174:175], v13 offset:3328             // 000000003810: DBC60D00 AE00000D
	v_mfma_f32_16x16x32_bf16 v[46:49], a[100:103], a[28:31], v[46:49]// 000000003818: D3B5002E 1CBA3964
	v_mfma_f32_16x16x32_bf16 v[46:49], a[104:107], a[32:35], v[46:49]// 000000003820: D3B5002E 1CBA4168
	ds_read_b64_tr_b16 a[176:177], v12 offset:4096             // 000000003828: DBC61000 B000000C
	ds_read_b64_tr_b16 a[178:179], v12 offset:4352             // 000000003830: DBC61100 B200000C
	ds_read_b64_tr_b16 a[180:181], v13 offset:4096             // 000000003838: DBC61000 B400000D
	ds_read_b64_tr_b16 a[182:183], v13 offset:4352             // 000000003840: DBC61100 B600000D
	v_mfma_f32_16x16x32_bf16 v[46:49], a[108:111], a[36:39], v[46:49]// 000000003848: D3B5002E 1CBA496C
	v_mfma_f32_16x16x32_bf16 v[46:49], a[112:115], a[40:43], v[46:49]// 000000003850: D3B5002E 1CBA5170
	ds_read_b64_tr_b16 a[184:185], v12 offset:5120             // 000000003858: DBC61400 B800000C
	ds_read_b64_tr_b16 a[186:187], v12 offset:5376             // 000000003860: DBC61500 BA00000C
	ds_read_b64_tr_b16 a[188:189], v13 offset:5120             // 000000003868: DBC61400 BC00000D
	ds_read_b64_tr_b16 a[190:191], v13 offset:5376             // 000000003870: DBC61500 BE00000D
	v_mfma_f32_16x16x32_bf16 v[46:49], a[116:119], a[44:47], v[46:49]// 000000003878: D3B5002E 1CBA5974
	v_mfma_f32_16x16x32_bf16 v[46:49], a[120:123], a[48:51], v[46:49]// 000000003880: D3B5002E 1CBA6178
	ds_read_b64_tr_b16 a[192:193], v12 offset:6144             // 000000003888: DBC61800 C000000C
	ds_read_b64_tr_b16 a[194:195], v12 offset:6400             // 000000003890: DBC61900 C200000C
	ds_read_b64_tr_b16 a[196:197], v13 offset:6144             // 000000003898: DBC61800 C400000D
	ds_read_b64_tr_b16 a[198:199], v13 offset:6400             // 0000000038A0: DBC61900 C600000D
	v_mfma_f32_16x16x32_bf16 v[46:49], a[124:127], a[52:55], v[46:49]// 0000000038A8: D3B5002E 1CBA697C
	v_mfma_f32_16x16x32_bf16 v[46:49], a[128:131], a[56:59], v[46:49]// 0000000038B0: D3B5002E 1CBA7180
	ds_read_b64_tr_b16 a[200:201], v12 offset:7168             // 0000000038B8: DBC61C00 C800000C
	ds_read_b64_tr_b16 a[202:203], v12 offset:7424             // 0000000038C0: DBC61D00 CA00000C
	ds_read_b64_tr_b16 a[204:205], v13 offset:7168             // 0000000038C8: DBC61C00 CC00000D
	ds_read_b64_tr_b16 a[206:207], v13 offset:7424             // 0000000038D0: DBC61D00 CE00000D
	v_mfma_f32_16x16x32_bf16 v[46:49], a[132:135], a[60:63], v[46:49]// 0000000038D8: D3B5002E 1CBA7984
	v_mfma_f32_16x16x32_bf16 v[46:49], a[136:139], a[64:67], v[46:49]// 0000000038E0: D3B5002E 1CBA8188
	v_mfma_f32_16x16x32_bf16 v[46:49], a[140:143], a[68:71], v[46:49]// 0000000038E8: D3B5002E 1CBA898C
	s_addk_i32 s70, 0x1                                        // 0000000038F0: B7460001
	s_cmp_eq_u32 s71, s70                                      // 0000000038F4: BF064647
	s_cbranch_scc1 label_62A0                                  // 0000000038F8: BF8513A9
	s_cmp_lt_i32 s7, 2                                         // 0000000038FC: BF048207
	s_cbranch_scc0 label_39D4                                  // 000000003900: BF840974

0000000000003904 <label_1404>:
	s_waitcnt lgkmcnt(0)                                       // 000000003904: BF8CC07F
	v_mul_u32_u24_e64 v32, v22, s68                            // 000000003908: D1080020 00008916
	v_add_u32_e32 v32, v32, v1                                 // 000000003910: 68400320
	v_mfma_f32_16x16x32_bf16 v[50:53], a[144:147], v[34:37], v[50:53]// 000000003914: D3B50032 0CCA4590
	v_mov_b32_e32 v29, v42                                     // 00000000391C: 7E3A032A
	v_max3_f32 v29, v42, v43, v29                              // 000000003920: D1D3001D 0476572A
	v_mfma_f32_16x16x32_bf16 v[54:57], a[148:151], v[34:37], v[54:57]// 000000003928: D3B50036 0CDA4594
	ds_read_b64_tr_b16 a[144:145], v12 offset:8192             // 000000003930: DBC62000 9000000C
	ds_read_b64_tr_b16 a[146:147], v12 offset:8448             // 000000003938: DBC62100 9200000C
	v_mfma_f32_16x16x32_bf16 v[58:61], a[152:155], v[34:37], v[58:61]// 000000003940: D3B5003A 0CEA4598
	v_max3_f32 v29, v44, v45, v29                              // 000000003948: D1D3001D 04765B2C
	v_max3_f32 v29, v46, v47, v29                              // 000000003950: D1D3001D 04765F2E
	v_mfma_f32_16x16x32_bf16 v[62:65], a[156:159], v[34:37], v[62:65]// 000000003958: D3B5003E 0CFA459C
	ds_read_b64_tr_b16 a[148:149], v13 offset:8192             // 000000003960: DBC62000 9400000D
	ds_read_b64_tr_b16 a[150:151], v13 offset:8448             // 000000003968: DBC62100 9600000D
	v_mfma_f32_16x16x32_bf16 v[66:69], a[160:163], v[34:37], v[66:69]// 000000003970: D3B50042 0D0A45A0
	v_max3_f32 v29, v48, v49, v29                              // 000000003978: D1D3001D 04766330
	v_mov_b32_e32 v28, v29                                     // 000000003980: 7E38031D
	v_mfma_f32_16x16x32_bf16 v[70:73], a[164:167], v[34:37], v[70:73]// 000000003984: D3B50046 0D1A45A4
	ds_read_b64_tr_b16 a[152:153], v12 offset:9216             // 00000000398C: DBC62400 9800000C
	ds_read_b64_tr_b16 a[154:155], v12 offset:9472             // 000000003994: DBC62500 9A00000C
	v_mfma_f32_16x16x32_bf16 v[74:77], a[168:171], v[34:37], v[74:77]// 00000000399C: D3B5004A 0D2A45A8
	v_mov_b32_e32 v29, v29                                     // 0000000039A4: 7E3A031D
	s_nop 1                                                    // 0000000039A8: BF800001
	v_mfma_f32_16x16x32_bf16 v[78:81], a[172:175], v[34:37], v[78:81]// 0000000039AC: D3B5004E 0D3A45AC
	ds_read_b64_tr_b16 a[156:157], v13 offset:9216             // 0000000039B4: DBC62400 9C00000D
	ds_read_b64_tr_b16 a[158:159], v13 offset:9472             // 0000000039BC: DBC62500 9E00000D
	v_mfma_f32_16x16x32_bf16 v[82:85], a[176:179], v[34:37], v[82:85]// 0000000039C4: D3B50052 0D4A45B0
	v_permlane16_swap_b32_e32 v28, v29                         // 0000000039CC: 7E38B31D
	v_mfma_f32_16x16x32_bf16 v[86:89], a[180:183], v[34:37], v[86:89]// 0000000039D0: D3B50056 0D5A45B4
	ds_read_b64_tr_b16 a[160:161], v12 offset:10240            // 0000000039D8: DBC62800 A000000C
	ds_read_b64_tr_b16 a[162:163], v12 offset:10496            // 0000000039E0: DBC62900 A200000C
	v_mfma_f32_16x16x32_bf16 v[90:93], a[184:187], v[34:37], v[90:93]// 0000000039E8: D3B5005A 0D6A45B8
	v_mov_b32_e32 v31, v28                                     // 0000000039F0: 7E3E031C
	v_mov_b32_e32 v30, v29                                     // 0000000039F4: 7E3C031D
	v_mfma_f32_16x16x32_bf16 v[94:97], a[188:191], v[34:37], v[94:97]// 0000000039F8: D3B5005E 0D7A45BC
	ds_read_b64_tr_b16 a[164:165], v13 offset:10240            // 000000003A00: DBC62800 A400000D
	ds_read_b64_tr_b16 a[166:167], v13 offset:10496            // 000000003A08: DBC62900 A600000D
	v_mfma_f32_16x16x32_bf16 v[98:101], a[192:195], v[34:37], v[98:101]// 000000003A10: D3B50062 0D8A45C0
	s_nop 1                                                    // 000000003A18: BF800001
	v_permlane32_swap_b32_e32 v28, v29                         // 000000003A1C: 7E38B51D
	v_mfma_f32_16x16x32_bf16 v[102:105], a[196:199], v[34:37], v[102:105]// 000000003A20: D3B50066 0D9A45C4
	ds_read_b64_tr_b16 a[168:169], v12 offset:11264            // 000000003A28: DBC62C00 A800000C
	ds_read_b64_tr_b16 a[170:171], v12 offset:11520            // 000000003A30: DBC62D00 AA00000C
	v_mfma_f32_16x16x32_bf16 v[106:109], a[200:203], v[34:37], v[106:109]// 000000003A38: D3B5006A 0DAA45C8
	v_permlane32_swap_b32_e32 v30, v31                         // 000000003A40: 7E3CB51F
	v_mfma_f32_16x16x32_bf16 v[110:113], a[204:207], v[34:37], v[110:113]// 000000003A44: D3B5006E 0DBA45CC
	ds_read_b64_tr_b16 a[172:173], v13 offset:11264            // 000000003A4C: DBC62C00 AC00000D
	ds_read_b64_tr_b16 a[174:175], v13 offset:11520            // 000000003A54: DBC62D00 AE00000D
	ds_read_b64_tr_b16 a[176:177], v12 offset:12288            // 000000003A5C: DBC63000 B000000C
	ds_read_b64_tr_b16 a[178:179], v12 offset:12544            // 000000003A64: DBC63100 B200000C
	ds_read_b64_tr_b16 a[180:181], v13 offset:12288            // 000000003A6C: DBC63000 B400000D
	ds_read_b64_tr_b16 a[182:183], v13 offset:12544            // 000000003A74: DBC63100 B600000D
	ds_read_b64_tr_b16 a[184:185], v12 offset:13312            // 000000003A7C: DBC63400 B800000C
	ds_read_b64_tr_b16 a[186:187], v12 offset:13568            // 000000003A84: DBC63500 BA00000C
	ds_read_b64_tr_b16 a[188:189], v13 offset:13312            // 000000003A8C: DBC63400 BC00000D
	ds_read_b64_tr_b16 a[190:191], v13 offset:13568            // 000000003A94: DBC63500 BE00000D
	s_waitcnt lgkmcnt(0)                                       // 000000003A9C: BF8CC07F
	v_mfma_f32_16x16x32_bf16 v[114:117], a[144:147], v[34:37], v[114:117]// 000000003AA0: D3B50072 0DCA4590
	ds_read_b64_tr_b16 a[192:193], v12 offset:14336            // 000000003AA8: DBC63800 C000000C
	ds_read_b64_tr_b16 a[194:195], v12 offset:14592            // 000000003AB0: DBC63900 C200000C
	v_mfma_f32_16x16x32_bf16 v[118:121], a[148:151], v[34:37], v[118:121]// 000000003AB8: D3B50076 0DDA4594
	s_waitcnt vmcnt(10)                                        // 000000003AC0: BF8C0F7A
	s_barrier                                                  // 000000003AC4: BF8A0000
	ds_read_b128 a[72:75], v18                                 // 000000003AC8: DBFE0000 48000012
	ds_read_b128 a[76:79], v18 offset:1024                     // 000000003AD0: DBFE0400 4C000012
	v_mfma_f32_16x16x32_bf16 v[122:125], a[152:155], v[34:37], v[122:125]// 000000003AD8: D3B5007A 0DEA4598
	ds_read_b64_tr_b16 a[196:197], v13 offset:14336            // 000000003AE0: DBC63800 C400000D
	ds_read_b64_tr_b16 a[198:199], v13 offset:14592            // 000000003AE8: DBC63900 C600000D
	v_mfma_f32_16x16x32_bf16 v[126:129], a[156:159], v[34:37], v[126:129]// 000000003AF0: D3B5007E 0DFA459C
	ds_read_b128 a[80:83], v18 offset:2048                     // 000000003AF8: DBFE0800 50000012
	ds_read_b128 a[84:87], v18 offset:3072                     // 000000003B00: DBFE0C00 54000012
	v_mfma_f32_16x16x32_bf16 v[130:133], a[160:163], v[34:37], v[130:133]// 000000003B08: D3B50082 0E0A45A0
	ds_read_b64_tr_b16 a[200:201], v12 offset:15360            // 000000003B10: DBC63C00 C800000C
	ds_read_b64_tr_b16 a[202:203], v12 offset:15616            // 000000003B18: DBC63D00 CA00000C
	v_mfma_f32_16x16x32_bf16 v[134:137], a[164:167], v[34:37], v[134:137]// 000000003B20: D3B50086 0E1A45A4
	ds_read_b128 a[88:91], v18 offset:4096                     // 000000003B28: DBFE1000 58000012
	ds_read_b128 a[92:95], v18 offset:5120                     // 000000003B30: DBFE1400 5C000012
	v_mfma_f32_16x16x32_bf16 v[138:141], a[168:171], v[34:37], v[138:141]// 000000003B38: D3B5008A 0E2A45A8
	ds_read_b64_tr_b16 a[204:205], v13 offset:15360            // 000000003B40: DBC63C00 CC00000D
	ds_read_b64_tr_b16 a[206:207], v13 offset:15616            // 000000003B48: DBC63D00 CE00000D
	v_mfma_f32_16x16x32_bf16 v[142:145], a[172:175], v[34:37], v[142:145]// 000000003B50: D3B5008E 0E3A45AC
	ds_read_b128 a[96:99], v18 offset:6144                     // 000000003B58: DBFE1800 60000012
	ds_read_b128 a[100:103], v18 offset:7168                   // 000000003B60: DBFE1C00 64000012
	v_mfma_f32_16x16x32_bf16 v[146:149], a[176:179], v[34:37], v[146:149]// 000000003B68: D3B50092 0E4A45B0
	v_max3_f32 v29, v28, v29, v29                              // 000000003B70: D1D3001D 04763B1C
	v_max3_f32 v29, v30, v31, v29                              // 000000003B78: D1D3001D 04763F1E
	v_mfma_f32_16x16x32_bf16 v[150:153], a[180:183], v[34:37], v[150:153]// 000000003B80: D3B50096 0E5A45B4
	ds_read_b128 a[104:107], v18 offset:8192                   // 000000003B88: DBFE2000 68000012
	ds_read_b128 a[108:111], v18 offset:9216                   // 000000003B90: DBFE2400 6C000012
	v_mfma_f32_16x16x32_bf16 v[154:157], a[184:187], v[34:37], v[154:157]// 000000003B98: D3B5009A 0E6A45B8
	v_mov_b32_e32 v28, 0xff800000                              // 000000003BA0: 7E3802FF FF800000
	v_cmp_eq_u32_e64 s[36:37], v28, v2                         // 000000003BA8: D0CA0024 0002051C
	v_mfma_f32_16x16x32_bf16 v[158:161], a[188:191], v[34:37], v[158:161]// 000000003BB0: D3B5009E 0E7A45BC
	ds_read_b128 a[112:115], v18 offset:10240                  // 000000003BB8: DBFE2800 70000012
	ds_read_b128 a[116:119], v18 offset:11264                  // 000000003BC0: DBFE2C00 74000012
	v_mfma_f32_16x16x32_bf16 v[162:165], a[192:195], v[34:37], v[162:165]// 000000003BC8: D3B500A2 0E8A45C0
	v_max_f32_e32 v29, v29, v2                                 // 000000003BD0: 163A051D
	v_sub_f32_e32 v16, v2, v29                                 // 000000003BD4: 04203B02
	v_mfma_f32_16x16x32_bf16 v[166:169], a[196:199], v[34:37], v[166:169]// 000000003BD8: D3B500A6 0E9A45C4
	ds_read_b128 a[120:123], v18 offset:12288                  // 000000003BE0: DBFE3000 78000012
	ds_read_b128 a[124:127], v18 offset:13312                  // 000000003BE8: DBFE3400 7C000012
	v_mfma_f32_16x16x32_bf16 v[170:173], a[200:203], v[34:37], v[170:173]// 000000003BF0: D3B500AA 0EAA45C8
	v_cndmask_b32_e64 v16, v16, 0, s[36:37]                    // 000000003BF8: D1000010 00910110
	v_mov_b32_e32 v2, v29                                      // 000000003C00: 7E04031D
	v_mfma_f32_16x16x32_bf16 v[174:177], a[204:207], v[34:37], v[174:177]// 000000003C04: D3B500AE 0EBA45CC
	ds_read_b128 a[128:131], v18 offset:14336                  // 000000003C0C: DBFE3800 80000012
	ds_read_b128 a[132:135], v18 offset:15360                  // 000000003C14: DBFE3C00 84000012
	ds_read_b128 a[136:139], v18 offset:16384                  // 000000003C1C: DBFE4000 88000012
	ds_read_b128 a[140:143], v18 offset:17408                  // 000000003C24: DBFE4400 8C000012
	s_waitcnt lgkmcnt(0)                                       // 000000003C2C: BF8CC07F
	v_mfma_f32_16x16x32_bf16 v[34:37], a[72:75], a[0:3], 0     // 000000003C30: D3B50022 1A020148
	buffer_load_dword v24, v26, s[24:27], 0 offen              // 000000003C38: E0501000 8006181A
	v_mul_f32_e32 v29, s5, v29                                 // 000000003C40: 0A3A3A05
	s_mov_b32 s56, 0x14000                                     // 000000003C44: BEB800FF 00014000
	s_mul_i32 s57, s7, 0x2400                                  // 000000003C4C: 9239FF07 00002400
	s_add_u32 m0, s56, s57                                     // 000000003C54: 807C3938
	buffer_load_dwordx4 v32, s[20:23], 0 offen lds             // 000000003C58: E05D1000 80050020
	s_add_i32 m0, m0, 0x3c0                                    // 000000003C60: 817CFF7C 000003C0
	v_mfma_f32_16x16x32_bf16 v[34:37], a[76:79], a[4:7], v[34:37]// 000000003C68: D3B50022 1C8A094C
	buffer_load_dwordx4 v32, s[20:23], 0 offen offset:64 lds   // 000000003C70: E05D1040 80050020
	s_add_i32 m0, m0, 0x3c0                                    // 000000003C78: 817CFF7C 000003C0
	v_mfma_f32_16x16x32_bf16 v[34:37], a[80:83], a[8:11], v[34:37]// 000000003C80: D3B50022 1C8A1150
	v_mul_f32_e32 v16, s5, v16                                 // 000000003C88: 0A202005
	v_exp_f32_e32 v16, v16                                     // 000000003C8C: 7E204110
	v_mfma_f32_16x16x32_bf16 v[34:37], a[84:87], a[12:15], v[34:37]// 000000003C90: D3B50022 1C8A1954
	v_add_u32_e32 v26, s73, v26                                // 000000003C98: 68343449
	ds_read_b128 a[72:75], v18 offset:18432                    // 000000003C9C: DBFE4800 48000012
	ds_read_b128 a[76:79], v18 offset:19456                    // 000000003CA4: DBFE4C00 4C000012
	v_fma_f32 v42, v42, s5, -v29                               // 000000003CAC: D1CB002A 84740B2A
	v_mfma_f32_16x16x32_bf16 v[34:37], a[88:91], a[16:19], v[34:37]// 000000003CB4: D3B50022 1C8A2158
	ds_read_b128 a[80:83], v18 offset:20480                    // 000000003CBC: DBFE5000 50000012
	ds_read_b128 a[84:87], v18 offset:21504                    // 000000003CC4: DBFE5400 54000012
	v_fma_f32 v43, v43, s5, -v29                               // 000000003CCC: D1CB002B 84740B2B
	v_mfma_f32_16x16x32_bf16 v[34:37], a[92:95], a[20:23], v[34:37]// 000000003CD4: D3B50022 1C8A295C
	buffer_load_dwordx4 v32, s[20:23], 0 offen offset:128 lds  // 000000003CDC: E05D1080 80050020
	s_add_i32 m0, m0, 0x3c0                                    // 000000003CE4: 817CFF7C 000003C0
	v_mfma_f32_16x16x32_bf16 v[34:37], a[96:99], a[24:27], v[34:37]// 000000003CEC: D3B50022 1C8A3160
	v_fma_f32 v44, v44, s5, -v29                               // 000000003CF4: D1CB002C 84740B2C
	v_fma_f32 v45, v45, s5, -v29                               // 000000003CFC: D1CB002D 84740B2D
	v_mfma_f32_16x16x32_bf16 v[34:37], a[100:103], a[28:31], v[34:37]// 000000003D04: D3B50022 1C8A3964
	ds_read_b128 a[88:91], v18 offset:22528                    // 000000003D0C: DBFE5800 58000012
	ds_read_b128 a[92:95], v18 offset:23552                    // 000000003D14: DBFE5C00 5C000012
	v_fma_f32 v46, v46, s5, -v29                               // 000000003D1C: D1CB002E 84740B2E
	v_mfma_f32_16x16x32_bf16 v[34:37], a[104:107], a[32:35], v[34:37]// 000000003D24: D3B50022 1C8A4168
	ds_read_b128 a[96:99], v18 offset:24576                    // 000000003D2C: DBFE6000 60000012
	ds_read_b128 a[100:103], v18 offset:25600                  // 000000003D34: DBFE6400 64000012
	v_fma_f32 v47, v47, s5, -v29                               // 000000003D3C: D1CB002F 84740B2F
	v_mfma_f32_16x16x32_bf16 v[34:37], a[108:111], a[36:39], v[34:37]// 000000003D44: D3B50022 1C8A496C
	buffer_load_dwordx4 v32, s[20:23], 0 offen offset:192 lds  // 000000003D4C: E05D10C0 80050020
	s_add_i32 m0, m0, 0x3c0                                    // 000000003D54: 817CFF7C 000003C0
	v_mfma_f32_16x16x32_bf16 v[34:37], a[112:115], a[40:43], v[34:37]// 000000003D5C: D3B50022 1C8A5170
	v_fma_f32 v48, v48, s5, -v29                               // 000000003D64: D1CB0030 84740B30
	v_fma_f32 v49, v49, s5, -v29                               // 000000003D6C: D1CB0031 84740B31
	v_mfma_f32_16x16x32_bf16 v[34:37], a[116:119], a[44:47], v[34:37]// 000000003D74: D3B50022 1C8A5974
	v_exp_f32_e32 v42, v42                                     // 000000003D7C: 7E54412A
	v_mfma_f32_16x16x32_bf16 v[34:37], a[120:123], a[48:51], v[34:37]// 000000003D80: D3B50022 1C8A6178
	ds_read_b128 a[104:107], v18 offset:26624                  // 000000003D88: DBFE6800 68000012
	ds_read_b128 a[108:111], v18 offset:27648                  // 000000003D90: DBFE6C00 6C000012
	v_exp_f32_e32 v43, v43                                     // 000000003D98: 7E56412B
	v_mfma_f32_16x16x32_bf16 v[34:37], a[124:127], a[52:55], v[34:37]// 000000003D9C: D3B50022 1C8A697C
	buffer_load_dwordx4 v32, s[20:23], 0 offen offset:256 lds  // 000000003DA4: E05D1100 80050020
	s_add_i32 m0, m0, 0x3c0                                    // 000000003DAC: 817CFF7C 000003C0
	v_mfma_f32_16x16x32_bf16 v[34:37], a[128:131], a[56:59], v[34:37]// 000000003DB4: D3B50022 1C8A7180
	v_exp_f32_e32 v44, v44                                     // 000000003DBC: 7E58412C
	v_mfma_f32_16x16x32_bf16 v[34:37], a[132:135], a[60:63], v[34:37]// 000000003DC0: D3B50022 1C8A7984
	ds_read_b128 a[112:115], v18 offset:28672                  // 000000003DC8: DBFE7000 70000012
	ds_read_b128 a[116:119], v18 offset:29696                  // 000000003DD0: DBFE7400 74000012
	v_exp_f32_e32 v45, v45                                     // 000000003DD8: 7E5A412D
	v_mfma_f32_16x16x32_bf16 v[34:37], a[136:139], a[64:67], v[34:37]// 000000003DDC: D3B50022 1C8A8188
	ds_read_b128 a[120:123], v18 offset:30720                  // 000000003DE4: DBFE7800 78000012
	ds_read_b128 a[124:127], v18 offset:31744                  // 000000003DEC: DBFE7C00 7C000012
	v_exp_f32_e32 v46, v46                                     // 000000003DF4: 7E5C412E
	v_mfma_f32_16x16x32_bf16 v[34:37], a[140:143], a[68:71], v[34:37]// 000000003DF8: D3B50022 1C8A898C
	ds_read_b128 a[128:131], v18 offset:32768                  // 000000003E00: DBFE8000 80000012
	ds_read_b128 a[132:135], v18 offset:33792                  // 000000003E08: DBFE8400 84000012
	v_exp_f32_e32 v47, v47                                     // 000000003E10: 7E5E412F
	ds_read_b128 a[136:139], v18 offset:34816                  // 000000003E14: DBFE8800 88000012
	ds_read_b128 a[140:143], v18 offset:35840                  // 000000003E1C: DBFE8C00 8C000012
	v_exp_f32_e32 v48, v48                                     // 000000003E24: 7E604130
	v_exp_f32_e32 v49, v49                                     // 000000003E28: 7E624131
	v_mul_f32_e32 v4, v16, v4                                  // 000000003E2C: 0A080910
	v_mov_b32_e32 v28, v42                                     // 000000003E30: 7E38032A
	v_add_f32_e32 v28, v43, v28                                // 000000003E34: 0238392B
	v_add_f32_e32 v28, v44, v28                                // 000000003E38: 0238392C
	v_add_f32_e32 v28, v45, v28                                // 000000003E3C: 0238392D
	v_add_f32_e32 v28, v46, v28                                // 000000003E40: 0238392E
	v_add_f32_e32 v28, v47, v28                                // 000000003E44: 0238392F
	v_add_f32_e32 v28, v48, v28                                // 000000003E48: 02383930
	v_add_f32_e32 v28, v49, v28                                // 000000003E4C: 02383931
	v_add_f32_e32 v4, v28, v4                                  // 000000003E50: 0208091C
	v_cvt_pk_bf16_f32 v42, v42, v43                            // 000000003E54: D268002A 0002572A
	v_cvt_pk_bf16_f32 v43, v44, v45                            // 000000003E5C: D268002B 00025B2C
	v_cvt_pk_bf16_f32 v44, v46, v47                            // 000000003E64: D268002C 00025F2E
	v_cvt_pk_bf16_f32 v45, v48, v49                            // 000000003E6C: D268002D 00026330
	s_nop 0                                                    // 000000003E74: BF800000
	v_permlane32_swap_b32_e32 v42, v44                         // 000000003E78: 7E54B52C
	v_permlane32_swap_b32_e32 v43, v45                         // 000000003E7C: 7E56B52D
	s_nop 0                                                    // 000000003E80: BF800000
	v_permlane16_swap_b32_e32 v42, v44                         // 000000003E84: 7E54B32C
	v_permlane16_swap_b32_e32 v43, v45                         // 000000003E88: 7E56B32D
	s_waitcnt lgkmcnt(0)                                       // 000000003E8C: BF8CC07F
	v_mfma_f32_16x16x32_bf16 v[38:41], a[72:75], a[0:3], 0     // 000000003E90: D3B50026 1A020148
	v_mul_f32_e32 v50, v16, v50                                // 000000003E98: 0A646510
	v_mul_f32_e32 v51, v16, v51                                // 000000003E9C: 0A666710
	ds_read_b64_tr_b16 a[144:145], v14                         // 000000003EA0: DBC60000 9000000E
	ds_read_b64_tr_b16 a[146:147], v14 offset:256              // 000000003EA8: DBC60100 9200000E
	v_mfma_f32_16x16x32_bf16 v[38:41], a[76:79], a[4:7], v[38:41]// 000000003EB0: D3B50026 1C9A094C
	buffer_load_dwordx4 v32, s[20:23], 0 offen offset:320 lds  // 000000003EB8: E05D1140 80050020
	s_add_i32 m0, m0, 0x3c0                                    // 000000003EC0: 817CFF7C 000003C0
	v_mul_f32_e32 v52, v16, v52                                // 000000003EC8: 0A686910
	v_mul_f32_e32 v53, v16, v53                                // 000000003ECC: 0A6A6B10
	v_mfma_f32_16x16x32_bf16 v[38:41], a[80:83], a[8:11], v[38:41]// 000000003ED0: D3B50026 1C9A1150
	v_mul_f32_e32 v54, v16, v54                                // 000000003ED8: 0A6C6D10
	v_mul_f32_e32 v55, v16, v55                                // 000000003EDC: 0A6E6F10
	ds_read_b64_tr_b16 a[148:149], v15                         // 000000003EE0: DBC60000 9400000F
	ds_read_b64_tr_b16 a[150:151], v15 offset:256              // 000000003EE8: DBC60100 9600000F
	v_mfma_f32_16x16x32_bf16 v[38:41], a[84:87], a[12:15], v[38:41]// 000000003EF0: D3B50026 1C9A1954
	v_mul_f32_e32 v56, v16, v56                                // 000000003EF8: 0A707110
	v_mul_f32_e32 v57, v16, v57                                // 000000003EFC: 0A727310
	ds_read_b64_tr_b16 a[152:153], v14 offset:1024             // 000000003F00: DBC60400 9800000E
	ds_read_b64_tr_b16 a[154:155], v14 offset:1280             // 000000003F08: DBC60500 9A00000E
	v_mfma_f32_16x16x32_bf16 v[38:41], a[88:91], a[16:19], v[38:41]// 000000003F10: D3B50026 1C9A2158
	v_mul_f32_e32 v58, v16, v58                                // 000000003F18: 0A747510
	v_mul_f32_e32 v59, v16, v59                                // 000000003F1C: 0A767710
	ds_read_b64_tr_b16 a[156:157], v15 offset:1024             // 000000003F20: DBC60400 9C00000F
	ds_read_b64_tr_b16 a[158:159], v15 offset:1280             // 000000003F28: DBC60500 9E00000F
	v_mfma_f32_16x16x32_bf16 v[38:41], a[92:95], a[20:23], v[38:41]// 000000003F30: D3B50026 1C9A295C
	v_mul_f32_e32 v60, v16, v60                                // 000000003F38: 0A787910
	v_mul_f32_e32 v61, v16, v61                                // 000000003F3C: 0A7A7B10
	ds_read_b64_tr_b16 a[160:161], v14 offset:2048             // 000000003F40: DBC60800 A000000E
	ds_read_b64_tr_b16 a[162:163], v14 offset:2304             // 000000003F48: DBC60900 A200000E
	v_mfma_f32_16x16x32_bf16 v[38:41], a[96:99], a[24:27], v[38:41]// 000000003F50: D3B50026 1C9A3160
	v_mul_f32_e32 v62, v16, v62                                // 000000003F58: 0A7C7D10
	v_mul_f32_e32 v63, v16, v63                                // 000000003F5C: 0A7E7F10
	ds_read_b64_tr_b16 a[164:165], v15 offset:2048             // 000000003F60: DBC60800 A400000F
	ds_read_b64_tr_b16 a[166:167], v15 offset:2304             // 000000003F68: DBC60900 A600000F
	v_mfma_f32_16x16x32_bf16 v[38:41], a[100:103], a[28:31], v[38:41]// 000000003F70: D3B50026 1C9A3964
	buffer_load_dwordx4 v32, s[20:23], 0 offen offset:384 lds  // 000000003F78: E05D1180 80050020
	s_add_i32 m0, m0, 0x3c0                                    // 000000003F80: 817CFF7C 000003C0
	v_mfma_f32_16x16x32_bf16 v[38:41], a[104:107], a[32:35], v[38:41]// 000000003F88: D3B50026 1C9A4168
	v_mul_f32_e32 v64, v16, v64                                // 000000003F90: 0A808110
	v_mul_f32_e32 v65, v16, v65                                // 000000003F94: 0A828310
	ds_read_b64_tr_b16 a[168:169], v14 offset:3072             // 000000003F98: DBC60C00 A800000E
	ds_read_b64_tr_b16 a[170:171], v14 offset:3328             // 000000003FA0: DBC60D00 AA00000E
	v_mfma_f32_16x16x32_bf16 v[38:41], a[108:111], a[36:39], v[38:41]// 000000003FA8: D3B50026 1C9A496C
	v_mul_f32_e32 v66, v16, v66                                // 000000003FB0: 0A848510
	v_mul_f32_e32 v67, v16, v67                                // 000000003FB4: 0A868710
	ds_read_b64_tr_b16 a[172:173], v15 offset:3072             // 000000003FB8: DBC60C00 AC00000F
	ds_read_b64_tr_b16 a[174:175], v15 offset:3328             // 000000003FC0: DBC60D00 AE00000F
	v_mfma_f32_16x16x32_bf16 v[38:41], a[112:115], a[40:43], v[38:41]// 000000003FC8: D3B50026 1C9A5170
	v_mul_f32_e32 v68, v16, v68                                // 000000003FD0: 0A888910
	v_mul_f32_e32 v69, v16, v69                                // 000000003FD4: 0A8A8B10
	ds_read_b64_tr_b16 a[176:177], v14 offset:4096             // 000000003FD8: DBC61000 B000000E
	ds_read_b64_tr_b16 a[178:179], v14 offset:4352             // 000000003FE0: DBC61100 B200000E
	v_mfma_f32_16x16x32_bf16 v[38:41], a[116:119], a[44:47], v[38:41]// 000000003FE8: D3B50026 1C9A5974
	buffer_load_dwordx4 v32, s[20:23], 0 offen offset:448 lds  // 000000003FF0: E05D11C0 80050020
	s_add_i32 m0, m0, 0x3c0                                    // 000000003FF8: 817CFF7C 000003C0
	v_mul_f32_e32 v70, v16, v70                                // 000000004000: 0A8C8D10
	v_mul_f32_e32 v71, v16, v71                                // 000000004004: 0A8E8F10
	v_mfma_f32_16x16x32_bf16 v[38:41], a[120:123], a[48:51], v[38:41]// 000000004008: D3B50026 1C9A6178
	v_mul_f32_e32 v72, v16, v72                                // 000000004010: 0A909110
	v_mul_f32_e32 v73, v16, v73                                // 000000004014: 0A929310
	ds_read_b64_tr_b16 a[180:181], v15 offset:4096             // 000000004018: DBC61000 B400000F
	ds_read_b64_tr_b16 a[182:183], v15 offset:4352             // 000000004020: DBC61100 B600000F
	v_mfma_f32_16x16x32_bf16 v[38:41], a[124:127], a[52:55], v[38:41]// 000000004028: D3B50026 1C9A697C
	v_mul_f32_e32 v74, v16, v74                                // 000000004030: 0A949510
	v_mul_f32_e32 v75, v16, v75                                // 000000004034: 0A969710
	ds_read_b64_tr_b16 a[184:185], v14 offset:5120             // 000000004038: DBC61400 B800000E
	ds_read_b64_tr_b16 a[186:187], v14 offset:5376             // 000000004040: DBC61500 BA00000E
	v_mfma_f32_16x16x32_bf16 v[38:41], a[128:131], a[56:59], v[38:41]// 000000004048: D3B50026 1C9A7180
	v_mul_f32_e32 v76, v16, v76                                // 000000004050: 0A989910
	v_mul_f32_e32 v77, v16, v77                                // 000000004054: 0A9A9B10
	ds_read_b64_tr_b16 a[188:189], v15 offset:5120             // 000000004058: DBC61400 BC00000F
	ds_read_b64_tr_b16 a[190:191], v15 offset:5376             // 000000004060: DBC61500 BE00000F
	v_mfma_f32_16x16x32_bf16 v[38:41], a[132:135], a[60:63], v[38:41]// 000000004068: D3B50026 1C9A7984
	buffer_load_dwordx4 v32, s[20:23], 0 offen offset:512 lds  // 000000004070: E05D1200 80050020
	s_add_i32 m0, m0, 0x3c0                                    // 000000004078: 817CFF7C 000003C0
	v_mfma_f32_16x16x32_bf16 v[38:41], a[136:139], a[64:67], v[38:41]// 000000004080: D3B50026 1C9A8188
	v_mul_f32_e32 v78, v16, v78                                // 000000004088: 0A9C9D10
	v_mul_f32_e32 v79, v16, v79                                // 00000000408C: 0A9E9F10
	ds_read_b64_tr_b16 a[192:193], v14 offset:6144             // 000000004090: DBC61800 C000000E
	ds_read_b64_tr_b16 a[194:195], v14 offset:6400             // 000000004098: DBC61900 C200000E
	ds_read_b64_tr_b16 a[196:197], v15 offset:6144             // 0000000040A0: DBC61800 C400000F
	ds_read_b64_tr_b16 a[198:199], v15 offset:6400             // 0000000040A8: DBC61900 C600000F
	ds_read_b64_tr_b16 a[200:201], v14 offset:7168             // 0000000040B0: DBC61C00 C800000E
	ds_read_b64_tr_b16 a[202:203], v14 offset:7424             // 0000000040B8: DBC61D00 CA00000E
	ds_read_b64_tr_b16 a[204:205], v15 offset:7168             // 0000000040C0: DBC61C00 CC00000F
	ds_read_b64_tr_b16 a[206:207], v15 offset:7424             // 0000000040C8: DBC61D00 CE00000F
	v_mov_b32_e32 v30, v16                                     // 0000000040D0: 7E3C0310
	v_mov_b32_e32 v31, v16                                     // 0000000040D4: 7E3E0310
	v_pk_mul_f32 v[80:81], v[30:31], v[80:81]                  // 0000000040D8: D3B14050 1802A11E
	v_pk_mul_f32 v[82:83], v[30:31], v[82:83]                  // 0000000040E0: D3B14052 1802A51E
	v_pk_mul_f32 v[84:85], v[30:31], v[84:85]                  // 0000000040E8: D3B14054 1802A91E
	v_pk_mul_f32 v[86:87], v[30:31], v[86:87]                  // 0000000040F0: D3B14056 1802AD1E
	v_pk_mul_f32 v[88:89], v[30:31], v[88:89]                  // 0000000040F8: D3B14058 1802B11E
	v_pk_mul_f32 v[90:91], v[30:31], v[90:91]                  // 000000004100: D3B1405A 1802B51E
	v_pk_mul_f32 v[92:93], v[30:31], v[92:93]                  // 000000004108: D3B1405C 1802B91E
	v_pk_mul_f32 v[94:95], v[30:31], v[94:95]                  // 000000004110: D3B1405E 1802BD1E
	v_pk_mul_f32 v[96:97], v[30:31], v[96:97]                  // 000000004118: D3B14060 1802C11E
	v_pk_mul_f32 v[98:99], v[30:31], v[98:99]                  // 000000004120: D3B14062 1802C51E
	v_pk_mul_f32 v[100:101], v[30:31], v[100:101]              // 000000004128: D3B14064 1802C91E
	v_pk_mul_f32 v[102:103], v[30:31], v[102:103]              // 000000004130: D3B14066 1802CD1E
	v_pk_mul_f32 v[104:105], v[30:31], v[104:105]              // 000000004138: D3B14068 1802D11E
	v_pk_mul_f32 v[106:107], v[30:31], v[106:107]              // 000000004140: D3B1406A 1802D51E
	v_pk_mul_f32 v[108:109], v[30:31], v[108:109]              // 000000004148: D3B1406C 1802D91E
	v_pk_mul_f32 v[110:111], v[30:31], v[110:111]              // 000000004150: D3B1406E 1802DD1E
	v_pk_mul_f32 v[112:113], v[30:31], v[112:113]              // 000000004158: D3B14070 1802E11E
	v_pk_mul_f32 v[114:115], v[30:31], v[114:115]              // 000000004160: D3B14072 1802E51E
	v_pk_mul_f32 v[116:117], v[30:31], v[116:117]              // 000000004168: D3B14074 1802E91E
	v_pk_mul_f32 v[118:119], v[30:31], v[118:119]              // 000000004170: D3B14076 1802ED1E
	v_pk_mul_f32 v[120:121], v[30:31], v[120:121]              // 000000004178: D3B14078 1802F11E
	v_pk_mul_f32 v[122:123], v[30:31], v[122:123]              // 000000004180: D3B1407A 1802F51E
	v_pk_mul_f32 v[124:125], v[30:31], v[124:125]              // 000000004188: D3B1407C 1802F91E
	v_pk_mul_f32 v[126:127], v[30:31], v[126:127]              // 000000004190: D3B1407E 1802FD1E
	v_pk_mul_f32 v[128:129], v[30:31], v[128:129]              // 000000004198: D3B14080 1803011E
	v_pk_mul_f32 v[130:131], v[30:31], v[130:131]              // 0000000041A0: D3B14082 1803051E
	v_pk_mul_f32 v[132:133], v[30:31], v[132:133]              // 0000000041A8: D3B14084 1803091E
	v_pk_mul_f32 v[134:135], v[30:31], v[134:135]              // 0000000041B0: D3B14086 18030D1E
	v_pk_mul_f32 v[136:137], v[30:31], v[136:137]              // 0000000041B8: D3B14088 1803111E
	v_pk_mul_f32 v[138:139], v[30:31], v[138:139]              // 0000000041C0: D3B1408A 1803151E
	v_pk_mul_f32 v[140:141], v[30:31], v[140:141]              // 0000000041C8: D3B1408C 1803191E
	v_pk_mul_f32 v[142:143], v[30:31], v[142:143]              // 0000000041D0: D3B1408E 18031D1E
	v_pk_mul_f32 v[144:145], v[30:31], v[144:145]              // 0000000041D8: D3B14090 1803211E
	v_pk_mul_f32 v[146:147], v[30:31], v[146:147]              // 0000000041E0: D3B14092 1803251E
	v_pk_mul_f32 v[148:149], v[30:31], v[148:149]              // 0000000041E8: D3B14094 1803291E
	v_pk_mul_f32 v[150:151], v[30:31], v[150:151]              // 0000000041F0: D3B14096 18032D1E
	v_pk_mul_f32 v[152:153], v[30:31], v[152:153]              // 0000000041F8: D3B14098 1803311E
	v_pk_mul_f32 v[154:155], v[30:31], v[154:155]              // 000000004200: D3B1409A 1803351E
	v_pk_mul_f32 v[156:157], v[30:31], v[156:157]              // 000000004208: D3B1409C 1803391E
	v_pk_mul_f32 v[158:159], v[30:31], v[158:159]              // 000000004210: D3B1409E 18033D1E
	v_pk_mul_f32 v[160:161], v[30:31], v[160:161]              // 000000004218: D3B140A0 1803411E
	v_pk_mul_f32 v[162:163], v[30:31], v[162:163]              // 000000004220: D3B140A2 1803451E
	v_pk_mul_f32 v[164:165], v[30:31], v[164:165]              // 000000004228: D3B140A4 1803491E
	v_pk_mul_f32 v[166:167], v[30:31], v[166:167]              // 000000004230: D3B140A6 18034D1E
	v_pk_mul_f32 v[168:169], v[30:31], v[168:169]              // 000000004238: D3B140A8 1803511E
	v_pk_mul_f32 v[170:171], v[30:31], v[170:171]              // 000000004240: D3B140AA 1803551E
	v_pk_mul_f32 v[172:173], v[30:31], v[172:173]              // 000000004248: D3B140AC 1803591E
	v_pk_mul_f32 v[174:175], v[30:31], v[174:175]              // 000000004250: D3B140AE 18035D1E
	v_pk_mul_f32 v[176:177], v[30:31], v[176:177]              // 000000004258: D3B140B0 1803611E
	v_mfma_f32_16x16x32_bf16 v[38:41], a[140:143], a[68:71], v[38:41]// 000000004260: D3B50026 1C9A898C
	s_addk_i32 s70, 0x1                                        // 000000004268: B7460001
	s_cmp_lt_i32 s70, s71                                      // 00000000426C: BF044746
	s_cbranch_scc0 label_39C8                                  // 000000004270: BF840715
	s_waitcnt lgkmcnt(0)                                       // 000000004274: BF8CC07F
	v_mul_u32_u24_e64 v32, v23, s68                            // 000000004278: D1080020 00008917
	v_add_u32_e32 v32, v32, v1                                 // 000000004280: 68400320
	v_mfma_f32_16x16x32_bf16 v[50:53], a[144:147], v[42:45], v[50:53]// 000000004284: D3B50032 0CCA5590
	v_mov_b32_e32 v29, v34                                     // 00000000428C: 7E3A0322
	v_max3_f32 v29, v34, v35, v29                              // 000000004290: D1D3001D 04764722
	v_mfma_f32_16x16x32_bf16 v[54:57], a[148:151], v[42:45], v[54:57]// 000000004298: D3B50036 0CDA5594
	ds_read_b64_tr_b16 a[144:145], v14 offset:8192             // 0000000042A0: DBC62000 9000000E
	ds_read_b64_tr_b16 a[146:147], v14 offset:8448             // 0000000042A8: DBC62100 9200000E
	v_mfma_f32_16x16x32_bf16 v[58:61], a[152:155], v[42:45], v[58:61]// 0000000042B0: D3B5003A 0CEA5598
	v_max3_f32 v29, v36, v37, v29                              // 0000000042B8: D1D3001D 04764B24
	v_max3_f32 v29, v38, v39, v29                              // 0000000042C0: D1D3001D 04764F26
	v_mfma_f32_16x16x32_bf16 v[62:65], a[156:159], v[42:45], v[62:65]// 0000000042C8: D3B5003E 0CFA559C
	ds_read_b64_tr_b16 a[148:149], v15 offset:8192             // 0000000042D0: DBC62000 9400000F
	ds_read_b64_tr_b16 a[150:151], v15 offset:8448             // 0000000042D8: DBC62100 9600000F
	v_mfma_f32_16x16x32_bf16 v[66:69], a[160:163], v[42:45], v[66:69]// 0000000042E0: D3B50042 0D0A55A0
	v_max3_f32 v29, v40, v41, v29                              // 0000000042E8: D1D3001D 04765328
	v_mov_b32_e32 v28, v29                                     // 0000000042F0: 7E38031D
	v_mfma_f32_16x16x32_bf16 v[70:73], a[164:167], v[42:45], v[70:73]// 0000000042F4: D3B50046 0D1A55A4
	ds_read_b64_tr_b16 a[152:153], v14 offset:9216             // 0000000042FC: DBC62400 9800000E
	ds_read_b64_tr_b16 a[154:155], v14 offset:9472             // 000000004304: DBC62500 9A00000E
	v_mfma_f32_16x16x32_bf16 v[74:77], a[168:171], v[42:45], v[74:77]// 00000000430C: D3B5004A 0D2A55A8
	v_mov_b32_e32 v29, v29                                     // 000000004314: 7E3A031D
	s_nop 1                                                    // 000000004318: BF800001
	v_mfma_f32_16x16x32_bf16 v[78:81], a[172:175], v[42:45], v[78:81]// 00000000431C: D3B5004E 0D3A55AC
	ds_read_b64_tr_b16 a[156:157], v15 offset:9216             // 000000004324: DBC62400 9C00000F
	ds_read_b64_tr_b16 a[158:159], v15 offset:9472             // 00000000432C: DBC62500 9E00000F
	v_mfma_f32_16x16x32_bf16 v[82:85], a[176:179], v[42:45], v[82:85]// 000000004334: D3B50052 0D4A55B0
	v_permlane16_swap_b32_e32 v28, v29                         // 00000000433C: 7E38B31D
	v_mfma_f32_16x16x32_bf16 v[86:89], a[180:183], v[42:45], v[86:89]// 000000004340: D3B50056 0D5A55B4
	ds_read_b64_tr_b16 a[160:161], v14 offset:10240            // 000000004348: DBC62800 A000000E
	ds_read_b64_tr_b16 a[162:163], v14 offset:10496            // 000000004350: DBC62900 A200000E
	v_mfma_f32_16x16x32_bf16 v[90:93], a[184:187], v[42:45], v[90:93]// 000000004358: D3B5005A 0D6A55B8
	v_mov_b32_e32 v31, v28                                     // 000000004360: 7E3E031C
	v_mov_b32_e32 v30, v29                                     // 000000004364: 7E3C031D
	v_mfma_f32_16x16x32_bf16 v[94:97], a[188:191], v[42:45], v[94:97]// 000000004368: D3B5005E 0D7A55BC
	ds_read_b64_tr_b16 a[164:165], v15 offset:10240            // 000000004370: DBC62800 A400000F
	ds_read_b64_tr_b16 a[166:167], v15 offset:10496            // 000000004378: DBC62900 A600000F
	v_mfma_f32_16x16x32_bf16 v[98:101], a[192:195], v[42:45], v[98:101]// 000000004380: D3B50062 0D8A55C0
	s_nop 1                                                    // 000000004388: BF800001
	v_permlane32_swap_b32_e32 v28, v29                         // 00000000438C: 7E38B51D
	v_mfma_f32_16x16x32_bf16 v[102:105], a[196:199], v[42:45], v[102:105]// 000000004390: D3B50066 0D9A55C4
	ds_read_b64_tr_b16 a[168:169], v14 offset:11264            // 000000004398: DBC62C00 A800000E
	ds_read_b64_tr_b16 a[170:171], v14 offset:11520            // 0000000043A0: DBC62D00 AA00000E
	v_mfma_f32_16x16x32_bf16 v[106:109], a[200:203], v[42:45], v[106:109]// 0000000043A8: D3B5006A 0DAA55C8
	v_permlane32_swap_b32_e32 v30, v31                         // 0000000043B0: 7E3CB51F
	v_mfma_f32_16x16x32_bf16 v[110:113], a[204:207], v[42:45], v[110:113]// 0000000043B4: D3B5006E 0DBA55CC
	ds_read_b64_tr_b16 a[172:173], v15 offset:11264            // 0000000043BC: DBC62C00 AC00000F
	ds_read_b64_tr_b16 a[174:175], v15 offset:11520            // 0000000043C4: DBC62D00 AE00000F
	ds_read_b64_tr_b16 a[176:177], v14 offset:12288            // 0000000043CC: DBC63000 B000000E
	ds_read_b64_tr_b16 a[178:179], v14 offset:12544            // 0000000043D4: DBC63100 B200000E
	ds_read_b64_tr_b16 a[180:181], v15 offset:12288            // 0000000043DC: DBC63000 B400000F
	ds_read_b64_tr_b16 a[182:183], v15 offset:12544            // 0000000043E4: DBC63100 B600000F
	ds_read_b64_tr_b16 a[184:185], v14 offset:13312            // 0000000043EC: DBC63400 B800000E
	ds_read_b64_tr_b16 a[186:187], v14 offset:13568            // 0000000043F4: DBC63500 BA00000E
	ds_read_b64_tr_b16 a[188:189], v15 offset:13312            // 0000000043FC: DBC63400 BC00000F
	ds_read_b64_tr_b16 a[190:191], v15 offset:13568            // 000000004404: DBC63500 BE00000F
	s_waitcnt lgkmcnt(0)                                       // 00000000440C: BF8CC07F
	v_mfma_f32_16x16x32_bf16 v[114:117], a[144:147], v[42:45], v[114:117]// 000000004410: D3B50072 0DCA5590
	ds_read_b64_tr_b16 a[192:193], v14 offset:14336            // 000000004418: DBC63800 C000000E
	ds_read_b64_tr_b16 a[194:195], v14 offset:14592            // 000000004420: DBC63900 C200000E
	v_mfma_f32_16x16x32_bf16 v[118:121], a[148:151], v[42:45], v[118:121]// 000000004428: D3B50076 0DDA5594
	s_waitcnt vmcnt(10)                                        // 000000004430: BF8C0F7A
	s_barrier                                                  // 000000004434: BF8A0000
	ds_read_b128 a[72:75], v19                                 // 000000004438: DBFE0000 48000013
	ds_read_b128 a[76:79], v19 offset:1024                     // 000000004440: DBFE0400 4C000013
	v_mfma_f32_16x16x32_bf16 v[122:125], a[152:155], v[42:45], v[122:125]// 000000004448: D3B5007A 0DEA5598
	ds_read_b64_tr_b16 a[196:197], v15 offset:14336            // 000000004450: DBC63800 C400000F
	ds_read_b64_tr_b16 a[198:199], v15 offset:14592            // 000000004458: DBC63900 C600000F
	v_mfma_f32_16x16x32_bf16 v[126:129], a[156:159], v[42:45], v[126:129]// 000000004460: D3B5007E 0DFA559C
	ds_read_b128 a[80:83], v19 offset:2048                     // 000000004468: DBFE0800 50000013
	ds_read_b128 a[84:87], v19 offset:3072                     // 000000004470: DBFE0C00 54000013
	v_mfma_f32_16x16x32_bf16 v[130:133], a[160:163], v[42:45], v[130:133]// 000000004478: D3B50082 0E0A55A0
	ds_read_b64_tr_b16 a[200:201], v14 offset:15360            // 000000004480: DBC63C00 C800000E
	ds_read_b64_tr_b16 a[202:203], v14 offset:15616            // 000000004488: DBC63D00 CA00000E
	v_mfma_f32_16x16x32_bf16 v[134:137], a[164:167], v[42:45], v[134:137]// 000000004490: D3B50086 0E1A55A4
	ds_read_b128 a[88:91], v19 offset:4096                     // 000000004498: DBFE1000 58000013
	ds_read_b128 a[92:95], v19 offset:5120                     // 0000000044A0: DBFE1400 5C000013
	v_mfma_f32_16x16x32_bf16 v[138:141], a[168:171], v[42:45], v[138:141]// 0000000044A8: D3B5008A 0E2A55A8
	ds_read_b64_tr_b16 a[204:205], v15 offset:15360            // 0000000044B0: DBC63C00 CC00000F
	ds_read_b64_tr_b16 a[206:207], v15 offset:15616            // 0000000044B8: DBC63D00 CE00000F
	v_mfma_f32_16x16x32_bf16 v[142:145], a[172:175], v[42:45], v[142:145]// 0000000044C0: D3B5008E 0E3A55AC
	ds_read_b128 a[96:99], v19 offset:6144                     // 0000000044C8: DBFE1800 60000013
	ds_read_b128 a[100:103], v19 offset:7168                   // 0000000044D0: DBFE1C00 64000013
	v_mfma_f32_16x16x32_bf16 v[146:149], a[176:179], v[42:45], v[146:149]// 0000000044D8: D3B50092 0E4A55B0
	v_max3_f32 v29, v28, v29, v29                              // 0000000044E0: D1D3001D 04763B1C
	v_max3_f32 v29, v30, v31, v29                              // 0000000044E8: D1D3001D 04763F1E
	v_mfma_f32_16x16x32_bf16 v[150:153], a[180:183], v[42:45], v[150:153]// 0000000044F0: D3B50096 0E5A55B4
	ds_read_b128 a[104:107], v19 offset:8192                   // 0000000044F8: DBFE2000 68000013
	ds_read_b128 a[108:111], v19 offset:9216                   // 000000004500: DBFE2400 6C000013
	v_mfma_f32_16x16x32_bf16 v[154:157], a[184:187], v[42:45], v[154:157]// 000000004508: D3B5009A 0E6A55B8
	v_mov_b32_e32 v28, 0xff800000                              // 000000004510: 7E3802FF FF800000
	v_cmp_eq_u32_e64 s[36:37], v28, v2                         // 000000004518: D0CA0024 0002051C
	v_mfma_f32_16x16x32_bf16 v[158:161], a[188:191], v[42:45], v[158:161]// 000000004520: D3B5009E 0E7A55BC
	ds_read_b128 a[112:115], v19 offset:10240                  // 000000004528: DBFE2800 70000013
	ds_read_b128 a[116:119], v19 offset:11264                  // 000000004530: DBFE2C00 74000013
	v_mfma_f32_16x16x32_bf16 v[162:165], a[192:195], v[42:45], v[162:165]// 000000004538: D3B500A2 0E8A55C0
	v_max_f32_e32 v29, v29, v2                                 // 000000004540: 163A051D
	v_sub_f32_e32 v16, v2, v29                                 // 000000004544: 04203B02
	v_mfma_f32_16x16x32_bf16 v[166:169], a[196:199], v[42:45], v[166:169]// 000000004548: D3B500A6 0E9A55C4
	ds_read_b128 a[120:123], v19 offset:12288                  // 000000004550: DBFE3000 78000013
	ds_read_b128 a[124:127], v19 offset:13312                  // 000000004558: DBFE3400 7C000013
	v_mfma_f32_16x16x32_bf16 v[170:173], a[200:203], v[42:45], v[170:173]// 000000004560: D3B500AA 0EAA55C8
	v_cndmask_b32_e64 v16, v16, 0, s[36:37]                    // 000000004568: D1000010 00910110
	v_mov_b32_e32 v2, v29                                      // 000000004570: 7E04031D
	v_mfma_f32_16x16x32_bf16 v[174:177], a[204:207], v[42:45], v[174:177]// 000000004574: D3B500AE 0EBA55CC
	ds_read_b128 a[128:131], v19 offset:14336                  // 00000000457C: DBFE3800 80000013
	ds_read_b128 a[132:135], v19 offset:15360                  // 000000004584: DBFE3C00 84000013
	ds_read_b128 a[136:139], v19 offset:16384                  // 00000000458C: DBFE4000 88000013
	ds_read_b128 a[140:143], v19 offset:17408                  // 000000004594: DBFE4400 8C000013
	s_waitcnt lgkmcnt(0)                                       // 00000000459C: BF8CC07F
	v_mfma_f32_16x16x32_bf16 v[42:45], a[72:75], a[0:3], 0     // 0000000045A0: D3B5002A 1A020148
	buffer_load_dword v25, v26, s[24:27], 0 offen              // 0000000045A8: E0501000 8006191A
	v_mul_f32_e32 v29, s5, v29                                 // 0000000045B0: 0A3A3A05
	s_mov_b32 s56, 0x1d000                                     // 0000000045B4: BEB800FF 0001D000
	s_mul_i32 s57, s7, 0x2400                                  // 0000000045BC: 9239FF07 00002400
	s_add_u32 m0, s56, s57                                     // 0000000045C4: 807C3938
	buffer_load_dwordx4 v32, s[20:23], 0 offen lds             // 0000000045C8: E05D1000 80050020
	s_add_i32 m0, m0, 0x3c0                                    // 0000000045D0: 817CFF7C 000003C0
	v_mfma_f32_16x16x32_bf16 v[42:45], a[76:79], a[4:7], v[42:45]// 0000000045D8: D3B5002A 1CAA094C
	buffer_load_dwordx4 v32, s[20:23], 0 offen offset:64 lds   // 0000000045E0: E05D1040 80050020
	s_add_i32 m0, m0, 0x3c0                                    // 0000000045E8: 817CFF7C 000003C0
	v_mfma_f32_16x16x32_bf16 v[42:45], a[80:83], a[8:11], v[42:45]// 0000000045F0: D3B5002A 1CAA1150
	v_mul_f32_e32 v16, s5, v16                                 // 0000000045F8: 0A202005
	v_exp_f32_e32 v16, v16                                     // 0000000045FC: 7E204110
	v_mfma_f32_16x16x32_bf16 v[42:45], a[84:87], a[12:15], v[42:45]// 000000004600: D3B5002A 1CAA1954
	v_add_u32_e32 v26, s73, v26                                // 000000004608: 68343449
	ds_read_b128 a[72:75], v19 offset:18432                    // 00000000460C: DBFE4800 48000013
	ds_read_b128 a[76:79], v19 offset:19456                    // 000000004614: DBFE4C00 4C000013
	v_fma_f32 v34, v34, s5, -v29                               // 00000000461C: D1CB0022 84740B22
	v_mfma_f32_16x16x32_bf16 v[42:45], a[88:91], a[16:19], v[42:45]// 000000004624: D3B5002A 1CAA2158
	ds_read_b128 a[80:83], v19 offset:20480                    // 00000000462C: DBFE5000 50000013
	ds_read_b128 a[84:87], v19 offset:21504                    // 000000004634: DBFE5400 54000013
	v_fma_f32 v35, v35, s5, -v29                               // 00000000463C: D1CB0023 84740B23
	v_mfma_f32_16x16x32_bf16 v[42:45], a[92:95], a[20:23], v[42:45]// 000000004644: D3B5002A 1CAA295C
	buffer_load_dwordx4 v32, s[20:23], 0 offen offset:128 lds  // 00000000464C: E05D1080 80050020
	s_add_i32 m0, m0, 0x3c0                                    // 000000004654: 817CFF7C 000003C0
	v_mfma_f32_16x16x32_bf16 v[42:45], a[96:99], a[24:27], v[42:45]// 00000000465C: D3B5002A 1CAA3160
	v_fma_f32 v36, v36, s5, -v29                               // 000000004664: D1CB0024 84740B24
	v_fma_f32 v37, v37, s5, -v29                               // 00000000466C: D1CB0025 84740B25
	v_mfma_f32_16x16x32_bf16 v[42:45], a[100:103], a[28:31], v[42:45]// 000000004674: D3B5002A 1CAA3964
	ds_read_b128 a[88:91], v19 offset:22528                    // 00000000467C: DBFE5800 58000013
	ds_read_b128 a[92:95], v19 offset:23552                    // 000000004684: DBFE5C00 5C000013
	v_fma_f32 v38, v38, s5, -v29                               // 00000000468C: D1CB0026 84740B26
	v_mfma_f32_16x16x32_bf16 v[42:45], a[104:107], a[32:35], v[42:45]// 000000004694: D3B5002A 1CAA4168
	ds_read_b128 a[96:99], v19 offset:24576                    // 00000000469C: DBFE6000 60000013
	ds_read_b128 a[100:103], v19 offset:25600                  // 0000000046A4: DBFE6400 64000013
	v_fma_f32 v39, v39, s5, -v29                               // 0000000046AC: D1CB0027 84740B27
	v_mfma_f32_16x16x32_bf16 v[42:45], a[108:111], a[36:39], v[42:45]// 0000000046B4: D3B5002A 1CAA496C
	buffer_load_dwordx4 v32, s[20:23], 0 offen offset:192 lds  // 0000000046BC: E05D10C0 80050020
	s_add_i32 m0, m0, 0x3c0                                    // 0000000046C4: 817CFF7C 000003C0
	v_mfma_f32_16x16x32_bf16 v[42:45], a[112:115], a[40:43], v[42:45]// 0000000046CC: D3B5002A 1CAA5170
	v_fma_f32 v40, v40, s5, -v29                               // 0000000046D4: D1CB0028 84740B28
	v_fma_f32 v41, v41, s5, -v29                               // 0000000046DC: D1CB0029 84740B29
	v_mfma_f32_16x16x32_bf16 v[42:45], a[116:119], a[44:47], v[42:45]// 0000000046E4: D3B5002A 1CAA5974
	v_exp_f32_e32 v34, v34                                     // 0000000046EC: 7E444122
	v_mfma_f32_16x16x32_bf16 v[42:45], a[120:123], a[48:51], v[42:45]// 0000000046F0: D3B5002A 1CAA6178
	ds_read_b128 a[104:107], v19 offset:26624                  // 0000000046F8: DBFE6800 68000013
	ds_read_b128 a[108:111], v19 offset:27648                  // 000000004700: DBFE6C00 6C000013
	v_exp_f32_e32 v35, v35                                     // 000000004708: 7E464123
	v_mfma_f32_16x16x32_bf16 v[42:45], a[124:127], a[52:55], v[42:45]// 00000000470C: D3B5002A 1CAA697C
	buffer_load_dwordx4 v32, s[20:23], 0 offen offset:256 lds  // 000000004714: E05D1100 80050020
	s_add_i32 m0, m0, 0x3c0                                    // 00000000471C: 817CFF7C 000003C0
	v_mfma_f32_16x16x32_bf16 v[42:45], a[128:131], a[56:59], v[42:45]// 000000004724: D3B5002A 1CAA7180
	v_exp_f32_e32 v36, v36                                     // 00000000472C: 7E484124
	v_mfma_f32_16x16x32_bf16 v[42:45], a[132:135], a[60:63], v[42:45]// 000000004730: D3B5002A 1CAA7984
	ds_read_b128 a[112:115], v19 offset:28672                  // 000000004738: DBFE7000 70000013
	ds_read_b128 a[116:119], v19 offset:29696                  // 000000004740: DBFE7400 74000013
	v_exp_f32_e32 v37, v37                                     // 000000004748: 7E4A4125
	v_mfma_f32_16x16x32_bf16 v[42:45], a[136:139], a[64:67], v[42:45]// 00000000474C: D3B5002A 1CAA8188
	ds_read_b128 a[120:123], v19 offset:30720                  // 000000004754: DBFE7800 78000013
	ds_read_b128 a[124:127], v19 offset:31744                  // 00000000475C: DBFE7C00 7C000013
	v_exp_f32_e32 v38, v38                                     // 000000004764: 7E4C4126
	v_mfma_f32_16x16x32_bf16 v[42:45], a[140:143], a[68:71], v[42:45]// 000000004768: D3B5002A 1CAA898C
	ds_read_b128 a[128:131], v19 offset:32768                  // 000000004770: DBFE8000 80000013
	ds_read_b128 a[132:135], v19 offset:33792                  // 000000004778: DBFE8400 84000013
	v_exp_f32_e32 v39, v39                                     // 000000004780: 7E4E4127
	ds_read_b128 a[136:139], v19 offset:34816                  // 000000004784: DBFE8800 88000013
	ds_read_b128 a[140:143], v19 offset:35840                  // 00000000478C: DBFE8C00 8C000013
	v_exp_f32_e32 v40, v40                                     // 000000004794: 7E504128
	v_exp_f32_e32 v41, v41                                     // 000000004798: 7E524129
	v_mul_f32_e32 v4, v16, v4                                  // 00000000479C: 0A080910
	v_mov_b32_e32 v28, v34                                     // 0000000047A0: 7E380322
	v_add_f32_e32 v28, v35, v28                                // 0000000047A4: 02383923
	v_add_f32_e32 v28, v36, v28                                // 0000000047A8: 02383924
	v_add_f32_e32 v28, v37, v28                                // 0000000047AC: 02383925
	v_add_f32_e32 v28, v38, v28                                // 0000000047B0: 02383926
	v_add_f32_e32 v28, v39, v28                                // 0000000047B4: 02383927
	v_add_f32_e32 v28, v40, v28                                // 0000000047B8: 02383928
	v_add_f32_e32 v28, v41, v28                                // 0000000047BC: 02383929
	v_add_f32_e32 v4, v28, v4                                  // 0000000047C0: 0208091C
	v_cvt_pk_bf16_f32 v34, v34, v35                            // 0000000047C4: D2680022 00024722
	v_cvt_pk_bf16_f32 v35, v36, v37                            // 0000000047CC: D2680023 00024B24
	v_cvt_pk_bf16_f32 v36, v38, v39                            // 0000000047D4: D2680024 00024F26
	v_cvt_pk_bf16_f32 v37, v40, v41                            // 0000000047DC: D2680025 00025328
	s_nop 0                                                    // 0000000047E4: BF800000
	v_permlane32_swap_b32_e32 v34, v36                         // 0000000047E8: 7E44B524
	v_permlane32_swap_b32_e32 v35, v37                         // 0000000047EC: 7E46B525
	s_nop 0                                                    // 0000000047F0: BF800000
	v_permlane16_swap_b32_e32 v34, v36                         // 0000000047F4: 7E44B324
	v_permlane16_swap_b32_e32 v35, v37                         // 0000000047F8: 7E46B325
	s_waitcnt lgkmcnt(0)                                       // 0000000047FC: BF8CC07F
	v_mfma_f32_16x16x32_bf16 v[46:49], a[72:75], a[0:3], 0     // 000000004800: D3B5002E 1A020148
	v_mul_f32_e32 v50, v16, v50                                // 000000004808: 0A646510
	v_mul_f32_e32 v51, v16, v51                                // 00000000480C: 0A666710
	ds_read_b64_tr_b16 a[144:145], v8                          // 000000004810: DBC60000 90000008
	ds_read_b64_tr_b16 a[146:147], v8 offset:256               // 000000004818: DBC60100 92000008
	v_mfma_f32_16x16x32_bf16 v[46:49], a[76:79], a[4:7], v[46:49]// 000000004820: D3B5002E 1CBA094C
	buffer_load_dwordx4 v32, s[20:23], 0 offen offset:320 lds  // 000000004828: E05D1140 80050020
	s_add_i32 m0, m0, 0x3c0                                    // 000000004830: 817CFF7C 000003C0
	v_mul_f32_e32 v52, v16, v52                                // 000000004838: 0A686910
	v_mul_f32_e32 v53, v16, v53                                // 00000000483C: 0A6A6B10
	v_mfma_f32_16x16x32_bf16 v[46:49], a[80:83], a[8:11], v[46:49]// 000000004840: D3B5002E 1CBA1150
	v_mul_f32_e32 v54, v16, v54                                // 000000004848: 0A6C6D10
	v_mul_f32_e32 v55, v16, v55                                // 00000000484C: 0A6E6F10
	ds_read_b64_tr_b16 a[148:149], v9                          // 000000004850: DBC60000 94000009
	ds_read_b64_tr_b16 a[150:151], v9 offset:256               // 000000004858: DBC60100 96000009
	v_mfma_f32_16x16x32_bf16 v[46:49], a[84:87], a[12:15], v[46:49]// 000000004860: D3B5002E 1CBA1954
	v_mul_f32_e32 v56, v16, v56                                // 000000004868: 0A707110
	v_mul_f32_e32 v57, v16, v57                                // 00000000486C: 0A727310
	ds_read_b64_tr_b16 a[152:153], v8 offset:1024              // 000000004870: DBC60400 98000008
	ds_read_b64_tr_b16 a[154:155], v8 offset:1280              // 000000004878: DBC60500 9A000008
	v_mfma_f32_16x16x32_bf16 v[46:49], a[88:91], a[16:19], v[46:49]// 000000004880: D3B5002E 1CBA2158
	v_mul_f32_e32 v58, v16, v58                                // 000000004888: 0A747510
	v_mul_f32_e32 v59, v16, v59                                // 00000000488C: 0A767710
	ds_read_b64_tr_b16 a[156:157], v9 offset:1024              // 000000004890: DBC60400 9C000009
	ds_read_b64_tr_b16 a[158:159], v9 offset:1280              // 000000004898: DBC60500 9E000009
	v_mfma_f32_16x16x32_bf16 v[46:49], a[92:95], a[20:23], v[46:49]// 0000000048A0: D3B5002E 1CBA295C
	v_mul_f32_e32 v60, v16, v60                                // 0000000048A8: 0A787910
	v_mul_f32_e32 v61, v16, v61                                // 0000000048AC: 0A7A7B10
	ds_read_b64_tr_b16 a[160:161], v8 offset:2048              // 0000000048B0: DBC60800 A0000008
	ds_read_b64_tr_b16 a[162:163], v8 offset:2304              // 0000000048B8: DBC60900 A2000008
	v_mfma_f32_16x16x32_bf16 v[46:49], a[96:99], a[24:27], v[46:49]// 0000000048C0: D3B5002E 1CBA3160
	v_mul_f32_e32 v62, v16, v62                                // 0000000048C8: 0A7C7D10
	v_mul_f32_e32 v63, v16, v63                                // 0000000048CC: 0A7E7F10
	ds_read_b64_tr_b16 a[164:165], v9 offset:2048              // 0000000048D0: DBC60800 A4000009
	ds_read_b64_tr_b16 a[166:167], v9 offset:2304              // 0000000048D8: DBC60900 A6000009
	v_mfma_f32_16x16x32_bf16 v[46:49], a[100:103], a[28:31], v[46:49]// 0000000048E0: D3B5002E 1CBA3964
	buffer_load_dwordx4 v32, s[20:23], 0 offen offset:384 lds  // 0000000048E8: E05D1180 80050020
	s_add_i32 m0, m0, 0x3c0                                    // 0000000048F0: 817CFF7C 000003C0
	v_mfma_f32_16x16x32_bf16 v[46:49], a[104:107], a[32:35], v[46:49]// 0000000048F8: D3B5002E 1CBA4168
	v_mul_f32_e32 v64, v16, v64                                // 000000004900: 0A808110
	v_mul_f32_e32 v65, v16, v65                                // 000000004904: 0A828310
	ds_read_b64_tr_b16 a[168:169], v8 offset:3072              // 000000004908: DBC60C00 A8000008
	ds_read_b64_tr_b16 a[170:171], v8 offset:3328              // 000000004910: DBC60D00 AA000008
	v_mfma_f32_16x16x32_bf16 v[46:49], a[108:111], a[36:39], v[46:49]// 000000004918: D3B5002E 1CBA496C
	v_mul_f32_e32 v66, v16, v66                                // 000000004920: 0A848510
	v_mul_f32_e32 v67, v16, v67                                // 000000004924: 0A868710
	ds_read_b64_tr_b16 a[172:173], v9 offset:3072              // 000000004928: DBC60C00 AC000009
	ds_read_b64_tr_b16 a[174:175], v9 offset:3328              // 000000004930: DBC60D00 AE000009
	v_mfma_f32_16x16x32_bf16 v[46:49], a[112:115], a[40:43], v[46:49]// 000000004938: D3B5002E 1CBA5170
	v_mul_f32_e32 v68, v16, v68                                // 000000004940: 0A888910
	v_mul_f32_e32 v69, v16, v69                                // 000000004944: 0A8A8B10
	ds_read_b64_tr_b16 a[176:177], v8 offset:4096              // 000000004948: DBC61000 B0000008
	ds_read_b64_tr_b16 a[178:179], v8 offset:4352              // 000000004950: DBC61100 B2000008
	v_mfma_f32_16x16x32_bf16 v[46:49], a[116:119], a[44:47], v[46:49]// 000000004958: D3B5002E 1CBA5974
	buffer_load_dwordx4 v32, s[20:23], 0 offen offset:448 lds  // 000000004960: E05D11C0 80050020
	s_add_i32 m0, m0, 0x3c0                                    // 000000004968: 817CFF7C 000003C0
	v_mul_f32_e32 v70, v16, v70                                // 000000004970: 0A8C8D10
	v_mul_f32_e32 v71, v16, v71                                // 000000004974: 0A8E8F10
	v_mfma_f32_16x16x32_bf16 v[46:49], a[120:123], a[48:51], v[46:49]// 000000004978: D3B5002E 1CBA6178
	v_mul_f32_e32 v72, v16, v72                                // 000000004980: 0A909110
	v_mul_f32_e32 v73, v16, v73                                // 000000004984: 0A929310
	ds_read_b64_tr_b16 a[180:181], v9 offset:4096              // 000000004988: DBC61000 B4000009
	ds_read_b64_tr_b16 a[182:183], v9 offset:4352              // 000000004990: DBC61100 B6000009
	v_mfma_f32_16x16x32_bf16 v[46:49], a[124:127], a[52:55], v[46:49]// 000000004998: D3B5002E 1CBA697C
	v_mul_f32_e32 v74, v16, v74                                // 0000000049A0: 0A949510
	v_mul_f32_e32 v75, v16, v75                                // 0000000049A4: 0A969710
	ds_read_b64_tr_b16 a[184:185], v8 offset:5120              // 0000000049A8: DBC61400 B8000008
	ds_read_b64_tr_b16 a[186:187], v8 offset:5376              // 0000000049B0: DBC61500 BA000008
	v_mfma_f32_16x16x32_bf16 v[46:49], a[128:131], a[56:59], v[46:49]// 0000000049B8: D3B5002E 1CBA7180
	v_mul_f32_e32 v76, v16, v76                                // 0000000049C0: 0A989910
	v_mul_f32_e32 v77, v16, v77                                // 0000000049C4: 0A9A9B10
	ds_read_b64_tr_b16 a[188:189], v9 offset:5120              // 0000000049C8: DBC61400 BC000009
	ds_read_b64_tr_b16 a[190:191], v9 offset:5376              // 0000000049D0: DBC61500 BE000009
	v_mfma_f32_16x16x32_bf16 v[46:49], a[132:135], a[60:63], v[46:49]// 0000000049D8: D3B5002E 1CBA7984
	buffer_load_dwordx4 v32, s[20:23], 0 offen offset:512 lds  // 0000000049E0: E05D1200 80050020
	s_add_i32 m0, m0, 0x3c0                                    // 0000000049E8: 817CFF7C 000003C0
	v_mfma_f32_16x16x32_bf16 v[46:49], a[136:139], a[64:67], v[46:49]// 0000000049F0: D3B5002E 1CBA8188
	v_mul_f32_e32 v78, v16, v78                                // 0000000049F8: 0A9C9D10
	v_mul_f32_e32 v79, v16, v79                                // 0000000049FC: 0A9E9F10
	ds_read_b64_tr_b16 a[192:193], v8 offset:6144              // 000000004A00: DBC61800 C0000008
	ds_read_b64_tr_b16 a[194:195], v8 offset:6400              // 000000004A08: DBC61900 C2000008
	ds_read_b64_tr_b16 a[196:197], v9 offset:6144              // 000000004A10: DBC61800 C4000009
	ds_read_b64_tr_b16 a[198:199], v9 offset:6400              // 000000004A18: DBC61900 C6000009
	ds_read_b64_tr_b16 a[200:201], v8 offset:7168              // 000000004A20: DBC61C00 C8000008
	ds_read_b64_tr_b16 a[202:203], v8 offset:7424              // 000000004A28: DBC61D00 CA000008
	ds_read_b64_tr_b16 a[204:205], v9 offset:7168              // 000000004A30: DBC61C00 CC000009
	ds_read_b64_tr_b16 a[206:207], v9 offset:7424              // 000000004A38: DBC61D00 CE000009
	v_mov_b32_e32 v30, v16                                     // 000000004A40: 7E3C0310
	v_mov_b32_e32 v31, v16                                     // 000000004A44: 7E3E0310
	v_pk_mul_f32 v[80:81], v[30:31], v[80:81]                  // 000000004A48: D3B14050 1802A11E
	v_pk_mul_f32 v[82:83], v[30:31], v[82:83]                  // 000000004A50: D3B14052 1802A51E
	v_pk_mul_f32 v[84:85], v[30:31], v[84:85]                  // 000000004A58: D3B14054 1802A91E
	v_pk_mul_f32 v[86:87], v[30:31], v[86:87]                  // 000000004A60: D3B14056 1802AD1E
	v_pk_mul_f32 v[88:89], v[30:31], v[88:89]                  // 000000004A68: D3B14058 1802B11E
	v_pk_mul_f32 v[90:91], v[30:31], v[90:91]                  // 000000004A70: D3B1405A 1802B51E
	v_pk_mul_f32 v[92:93], v[30:31], v[92:93]                  // 000000004A78: D3B1405C 1802B91E
	v_pk_mul_f32 v[94:95], v[30:31], v[94:95]                  // 000000004A80: D3B1405E 1802BD1E
	v_pk_mul_f32 v[96:97], v[30:31], v[96:97]                  // 000000004A88: D3B14060 1802C11E
	v_pk_mul_f32 v[98:99], v[30:31], v[98:99]                  // 000000004A90: D3B14062 1802C51E
	v_pk_mul_f32 v[100:101], v[30:31], v[100:101]              // 000000004A98: D3B14064 1802C91E
	v_pk_mul_f32 v[102:103], v[30:31], v[102:103]              // 000000004AA0: D3B14066 1802CD1E
	v_pk_mul_f32 v[104:105], v[30:31], v[104:105]              // 000000004AA8: D3B14068 1802D11E
	v_pk_mul_f32 v[106:107], v[30:31], v[106:107]              // 000000004AB0: D3B1406A 1802D51E
	v_pk_mul_f32 v[108:109], v[30:31], v[108:109]              // 000000004AB8: D3B1406C 1802D91E
	v_pk_mul_f32 v[110:111], v[30:31], v[110:111]              // 000000004AC0: D3B1406E 1802DD1E
	v_pk_mul_f32 v[112:113], v[30:31], v[112:113]              // 000000004AC8: D3B14070 1802E11E
	v_pk_mul_f32 v[114:115], v[30:31], v[114:115]              // 000000004AD0: D3B14072 1802E51E
	v_pk_mul_f32 v[116:117], v[30:31], v[116:117]              // 000000004AD8: D3B14074 1802E91E
	v_pk_mul_f32 v[118:119], v[30:31], v[118:119]              // 000000004AE0: D3B14076 1802ED1E
	v_pk_mul_f32 v[120:121], v[30:31], v[120:121]              // 000000004AE8: D3B14078 1802F11E
	v_pk_mul_f32 v[122:123], v[30:31], v[122:123]              // 000000004AF0: D3B1407A 1802F51E
	v_pk_mul_f32 v[124:125], v[30:31], v[124:125]              // 000000004AF8: D3B1407C 1802F91E
	v_pk_mul_f32 v[126:127], v[30:31], v[126:127]              // 000000004B00: D3B1407E 1802FD1E
	v_pk_mul_f32 v[128:129], v[30:31], v[128:129]              // 000000004B08: D3B14080 1803011E
	v_pk_mul_f32 v[130:131], v[30:31], v[130:131]              // 000000004B10: D3B14082 1803051E
	v_pk_mul_f32 v[132:133], v[30:31], v[132:133]              // 000000004B18: D3B14084 1803091E
	v_pk_mul_f32 v[134:135], v[30:31], v[134:135]              // 000000004B20: D3B14086 18030D1E
	v_pk_mul_f32 v[136:137], v[30:31], v[136:137]              // 000000004B28: D3B14088 1803111E
	v_pk_mul_f32 v[138:139], v[30:31], v[138:139]              // 000000004B30: D3B1408A 1803151E
	v_pk_mul_f32 v[140:141], v[30:31], v[140:141]              // 000000004B38: D3B1408C 1803191E
	v_pk_mul_f32 v[142:143], v[30:31], v[142:143]              // 000000004B40: D3B1408E 18031D1E
	v_pk_mul_f32 v[144:145], v[30:31], v[144:145]              // 000000004B48: D3B14090 1803211E
	v_pk_mul_f32 v[146:147], v[30:31], v[146:147]              // 000000004B50: D3B14092 1803251E
	v_pk_mul_f32 v[148:149], v[30:31], v[148:149]              // 000000004B58: D3B14094 1803291E
	v_pk_mul_f32 v[150:151], v[30:31], v[150:151]              // 000000004B60: D3B14096 18032D1E
	v_pk_mul_f32 v[152:153], v[30:31], v[152:153]              // 000000004B68: D3B14098 1803311E
	v_pk_mul_f32 v[154:155], v[30:31], v[154:155]              // 000000004B70: D3B1409A 1803351E
	v_pk_mul_f32 v[156:157], v[30:31], v[156:157]              // 000000004B78: D3B1409C 1803391E
	v_pk_mul_f32 v[158:159], v[30:31], v[158:159]              // 000000004B80: D3B1409E 18033D1E
	v_pk_mul_f32 v[160:161], v[30:31], v[160:161]              // 000000004B88: D3B140A0 1803411E
	v_pk_mul_f32 v[162:163], v[30:31], v[162:163]              // 000000004B90: D3B140A2 1803451E
	v_pk_mul_f32 v[164:165], v[30:31], v[164:165]              // 000000004B98: D3B140A4 1803491E
	v_pk_mul_f32 v[166:167], v[30:31], v[166:167]              // 000000004BA0: D3B140A6 18034D1E
	v_pk_mul_f32 v[168:169], v[30:31], v[168:169]              // 000000004BA8: D3B140A8 1803511E
	v_pk_mul_f32 v[170:171], v[30:31], v[170:171]              // 000000004BB0: D3B140AA 1803551E
	v_pk_mul_f32 v[172:173], v[30:31], v[172:173]              // 000000004BB8: D3B140AC 1803591E
	v_pk_mul_f32 v[174:175], v[30:31], v[174:175]              // 000000004BC0: D3B140AE 18035D1E
	v_pk_mul_f32 v[176:177], v[30:31], v[176:177]              // 000000004BC8: D3B140B0 1803611E
	v_mfma_f32_16x16x32_bf16 v[46:49], a[140:143], a[68:71], v[46:49]// 000000004BD0: D3B5002E 1CBA898C
	s_addk_i32 s70, 0x1                                        // 000000004BD8: B7460001
	s_cmp_lt_i32 s70, s71                                      // 000000004BDC: BF044746
	s_cbranch_scc0 label_39C8                                  // 000000004BE0: BF8404B9
	s_waitcnt lgkmcnt(0)                                       // 000000004BE4: BF8CC07F
	v_mul_u32_u24_e64 v32, v24, s68                            // 000000004BE8: D1080020 00008918
	v_add_u32_e32 v32, v32, v1                                 // 000000004BF0: 68400320
	v_mfma_f32_16x16x32_bf16 v[50:53], a[144:147], v[34:37], v[50:53]// 000000004BF4: D3B50032 0CCA4590
	v_mov_b32_e32 v29, v42                                     // 000000004BFC: 7E3A032A
	v_max3_f32 v29, v42, v43, v29                              // 000000004C00: D1D3001D 0476572A
	v_mfma_f32_16x16x32_bf16 v[54:57], a[148:151], v[34:37], v[54:57]// 000000004C08: D3B50036 0CDA4594
	ds_read_b64_tr_b16 a[144:145], v8 offset:8192              // 000000004C10: DBC62000 90000008
	ds_read_b64_tr_b16 a[146:147], v8 offset:8448              // 000000004C18: DBC62100 92000008
	v_mfma_f32_16x16x32_bf16 v[58:61], a[152:155], v[34:37], v[58:61]// 000000004C20: D3B5003A 0CEA4598
	v_max3_f32 v29, v44, v45, v29                              // 000000004C28: D1D3001D 04765B2C
	v_max3_f32 v29, v46, v47, v29                              // 000000004C30: D1D3001D 04765F2E
	v_mfma_f32_16x16x32_bf16 v[62:65], a[156:159], v[34:37], v[62:65]// 000000004C38: D3B5003E 0CFA459C
	ds_read_b64_tr_b16 a[148:149], v9 offset:8192              // 000000004C40: DBC62000 94000009
	ds_read_b64_tr_b16 a[150:151], v9 offset:8448              // 000000004C48: DBC62100 96000009
	v_mfma_f32_16x16x32_bf16 v[66:69], a[160:163], v[34:37], v[66:69]// 000000004C50: D3B50042 0D0A45A0
	v_max3_f32 v29, v48, v49, v29                              // 000000004C58: D1D3001D 04766330
	v_mov_b32_e32 v28, v29                                     // 000000004C60: 7E38031D
	v_mfma_f32_16x16x32_bf16 v[70:73], a[164:167], v[34:37], v[70:73]// 000000004C64: D3B50046 0D1A45A4
	ds_read_b64_tr_b16 a[152:153], v8 offset:9216              // 000000004C6C: DBC62400 98000008
	ds_read_b64_tr_b16 a[154:155], v8 offset:9472              // 000000004C74: DBC62500 9A000008
	v_mfma_f32_16x16x32_bf16 v[74:77], a[168:171], v[34:37], v[74:77]// 000000004C7C: D3B5004A 0D2A45A8
	v_mov_b32_e32 v29, v29                                     // 000000004C84: 7E3A031D
	s_nop 1                                                    // 000000004C88: BF800001
	v_mfma_f32_16x16x32_bf16 v[78:81], a[172:175], v[34:37], v[78:81]// 000000004C8C: D3B5004E 0D3A45AC
	ds_read_b64_tr_b16 a[156:157], v9 offset:9216              // 000000004C94: DBC62400 9C000009
	ds_read_b64_tr_b16 a[158:159], v9 offset:9472              // 000000004C9C: DBC62500 9E000009
	v_mfma_f32_16x16x32_bf16 v[82:85], a[176:179], v[34:37], v[82:85]// 000000004CA4: D3B50052 0D4A45B0
	v_permlane16_swap_b32_e32 v28, v29                         // 000000004CAC: 7E38B31D
	v_mfma_f32_16x16x32_bf16 v[86:89], a[180:183], v[34:37], v[86:89]// 000000004CB0: D3B50056 0D5A45B4
	ds_read_b64_tr_b16 a[160:161], v8 offset:10240             // 000000004CB8: DBC62800 A0000008
	ds_read_b64_tr_b16 a[162:163], v8 offset:10496             // 000000004CC0: DBC62900 A2000008
	v_mfma_f32_16x16x32_bf16 v[90:93], a[184:187], v[34:37], v[90:93]// 000000004CC8: D3B5005A 0D6A45B8
	v_mov_b32_e32 v31, v28                                     // 000000004CD0: 7E3E031C
	v_mov_b32_e32 v30, v29                                     // 000000004CD4: 7E3C031D
	v_mfma_f32_16x16x32_bf16 v[94:97], a[188:191], v[34:37], v[94:97]// 000000004CD8: D3B5005E 0D7A45BC
	ds_read_b64_tr_b16 a[164:165], v9 offset:10240             // 000000004CE0: DBC62800 A4000009
	ds_read_b64_tr_b16 a[166:167], v9 offset:10496             // 000000004CE8: DBC62900 A6000009
	v_mfma_f32_16x16x32_bf16 v[98:101], a[192:195], v[34:37], v[98:101]// 000000004CF0: D3B50062 0D8A45C0
	s_nop 1                                                    // 000000004CF8: BF800001
	v_permlane32_swap_b32_e32 v28, v29                         // 000000004CFC: 7E38B51D
	v_mfma_f32_16x16x32_bf16 v[102:105], a[196:199], v[34:37], v[102:105]// 000000004D00: D3B50066 0D9A45C4
	ds_read_b64_tr_b16 a[168:169], v8 offset:11264             // 000000004D08: DBC62C00 A8000008
	ds_read_b64_tr_b16 a[170:171], v8 offset:11520             // 000000004D10: DBC62D00 AA000008
	v_mfma_f32_16x16x32_bf16 v[106:109], a[200:203], v[34:37], v[106:109]// 000000004D18: D3B5006A 0DAA45C8
	v_permlane32_swap_b32_e32 v30, v31                         // 000000004D20: 7E3CB51F
	v_mfma_f32_16x16x32_bf16 v[110:113], a[204:207], v[34:37], v[110:113]// 000000004D24: D3B5006E 0DBA45CC
	ds_read_b64_tr_b16 a[172:173], v9 offset:11264             // 000000004D2C: DBC62C00 AC000009
	ds_read_b64_tr_b16 a[174:175], v9 offset:11520             // 000000004D34: DBC62D00 AE000009
	ds_read_b64_tr_b16 a[176:177], v8 offset:12288             // 000000004D3C: DBC63000 B0000008
	ds_read_b64_tr_b16 a[178:179], v8 offset:12544             // 000000004D44: DBC63100 B2000008
	ds_read_b64_tr_b16 a[180:181], v9 offset:12288             // 000000004D4C: DBC63000 B4000009
	ds_read_b64_tr_b16 a[182:183], v9 offset:12544             // 000000004D54: DBC63100 B6000009
	ds_read_b64_tr_b16 a[184:185], v8 offset:13312             // 000000004D5C: DBC63400 B8000008
	ds_read_b64_tr_b16 a[186:187], v8 offset:13568             // 000000004D64: DBC63500 BA000008
	ds_read_b64_tr_b16 a[188:189], v9 offset:13312             // 000000004D6C: DBC63400 BC000009
	ds_read_b64_tr_b16 a[190:191], v9 offset:13568             // 000000004D74: DBC63500 BE000009
	s_waitcnt lgkmcnt(0)                                       // 000000004D7C: BF8CC07F
	v_mfma_f32_16x16x32_bf16 v[114:117], a[144:147], v[34:37], v[114:117]// 000000004D80: D3B50072 0DCA4590
	ds_read_b64_tr_b16 a[192:193], v8 offset:14336             // 000000004D88: DBC63800 C0000008
	ds_read_b64_tr_b16 a[194:195], v8 offset:14592             // 000000004D90: DBC63900 C2000008
	v_mfma_f32_16x16x32_bf16 v[118:121], a[148:151], v[34:37], v[118:121]// 000000004D98: D3B50076 0DDA4594
	s_waitcnt vmcnt(10)                                        // 000000004DA0: BF8C0F7A
	s_barrier                                                  // 000000004DA4: BF8A0000
	ds_read_b128 a[72:75], v20                                 // 000000004DA8: DBFE0000 48000014
	ds_read_b128 a[76:79], v20 offset:1024                     // 000000004DB0: DBFE0400 4C000014
	v_mfma_f32_16x16x32_bf16 v[122:125], a[152:155], v[34:37], v[122:125]// 000000004DB8: D3B5007A 0DEA4598
	ds_read_b64_tr_b16 a[196:197], v9 offset:14336             // 000000004DC0: DBC63800 C4000009
	ds_read_b64_tr_b16 a[198:199], v9 offset:14592             // 000000004DC8: DBC63900 C6000009
	v_mfma_f32_16x16x32_bf16 v[126:129], a[156:159], v[34:37], v[126:129]// 000000004DD0: D3B5007E 0DFA459C
	ds_read_b128 a[80:83], v20 offset:2048                     // 000000004DD8: DBFE0800 50000014
	ds_read_b128 a[84:87], v20 offset:3072                     // 000000004DE0: DBFE0C00 54000014
	v_mfma_f32_16x16x32_bf16 v[130:133], a[160:163], v[34:37], v[130:133]// 000000004DE8: D3B50082 0E0A45A0
	ds_read_b64_tr_b16 a[200:201], v8 offset:15360             // 000000004DF0: DBC63C00 C8000008
	ds_read_b64_tr_b16 a[202:203], v8 offset:15616             // 000000004DF8: DBC63D00 CA000008
	v_mfma_f32_16x16x32_bf16 v[134:137], a[164:167], v[34:37], v[134:137]// 000000004E00: D3B50086 0E1A45A4
	ds_read_b128 a[88:91], v20 offset:4096                     // 000000004E08: DBFE1000 58000014
	ds_read_b128 a[92:95], v20 offset:5120                     // 000000004E10: DBFE1400 5C000014
	v_mfma_f32_16x16x32_bf16 v[138:141], a[168:171], v[34:37], v[138:141]// 000000004E18: D3B5008A 0E2A45A8
	ds_read_b64_tr_b16 a[204:205], v9 offset:15360             // 000000004E20: DBC63C00 CC000009
	ds_read_b64_tr_b16 a[206:207], v9 offset:15616             // 000000004E28: DBC63D00 CE000009
	v_mfma_f32_16x16x32_bf16 v[142:145], a[172:175], v[34:37], v[142:145]// 000000004E30: D3B5008E 0E3A45AC
	ds_read_b128 a[96:99], v20 offset:6144                     // 000000004E38: DBFE1800 60000014
	ds_read_b128 a[100:103], v20 offset:7168                   // 000000004E40: DBFE1C00 64000014
	v_mfma_f32_16x16x32_bf16 v[146:149], a[176:179], v[34:37], v[146:149]// 000000004E48: D3B50092 0E4A45B0
	v_max3_f32 v29, v28, v29, v29                              // 000000004E50: D1D3001D 04763B1C
	v_max3_f32 v29, v30, v31, v29                              // 000000004E58: D1D3001D 04763F1E
	v_mfma_f32_16x16x32_bf16 v[150:153], a[180:183], v[34:37], v[150:153]// 000000004E60: D3B50096 0E5A45B4
	ds_read_b128 a[104:107], v20 offset:8192                   // 000000004E68: DBFE2000 68000014
	ds_read_b128 a[108:111], v20 offset:9216                   // 000000004E70: DBFE2400 6C000014
	v_mfma_f32_16x16x32_bf16 v[154:157], a[184:187], v[34:37], v[154:157]// 000000004E78: D3B5009A 0E6A45B8
	v_mov_b32_e32 v28, 0xff800000                              // 000000004E80: 7E3802FF FF800000
	v_cmp_eq_u32_e64 s[36:37], v28, v2                         // 000000004E88: D0CA0024 0002051C
	v_mfma_f32_16x16x32_bf16 v[158:161], a[188:191], v[34:37], v[158:161]// 000000004E90: D3B5009E 0E7A45BC
	ds_read_b128 a[112:115], v20 offset:10240                  // 000000004E98: DBFE2800 70000014
	ds_read_b128 a[116:119], v20 offset:11264                  // 000000004EA0: DBFE2C00 74000014
	v_mfma_f32_16x16x32_bf16 v[162:165], a[192:195], v[34:37], v[162:165]// 000000004EA8: D3B500A2 0E8A45C0
	v_max_f32_e32 v29, v29, v2                                 // 000000004EB0: 163A051D
	v_sub_f32_e32 v16, v2, v29                                 // 000000004EB4: 04203B02
	v_mfma_f32_16x16x32_bf16 v[166:169], a[196:199], v[34:37], v[166:169]// 000000004EB8: D3B500A6 0E9A45C4
	ds_read_b128 a[120:123], v20 offset:12288                  // 000000004EC0: DBFE3000 78000014
	ds_read_b128 a[124:127], v20 offset:13312                  // 000000004EC8: DBFE3400 7C000014
	v_mfma_f32_16x16x32_bf16 v[170:173], a[200:203], v[34:37], v[170:173]// 000000004ED0: D3B500AA 0EAA45C8
	v_cndmask_b32_e64 v16, v16, 0, s[36:37]                    // 000000004ED8: D1000010 00910110
	v_mov_b32_e32 v2, v29                                      // 000000004EE0: 7E04031D
	v_mfma_f32_16x16x32_bf16 v[174:177], a[204:207], v[34:37], v[174:177]// 000000004EE4: D3B500AE 0EBA45CC
	ds_read_b128 a[128:131], v20 offset:14336                  // 000000004EEC: DBFE3800 80000014
	ds_read_b128 a[132:135], v20 offset:15360                  // 000000004EF4: DBFE3C00 84000014
	ds_read_b128 a[136:139], v20 offset:16384                  // 000000004EFC: DBFE4000 88000014
	ds_read_b128 a[140:143], v20 offset:17408                  // 000000004F04: DBFE4400 8C000014
	s_waitcnt lgkmcnt(0)                                       // 000000004F0C: BF8CC07F
	v_mfma_f32_16x16x32_bf16 v[34:37], a[72:75], a[0:3], 0     // 000000004F10: D3B50022 1A020148
	buffer_load_dword v22, v26, s[24:27], 0 offen              // 000000004F18: E0501000 8006161A
	v_mul_f32_e32 v29, s5, v29                                 // 000000004F20: 0A3A3A05
	s_mov_b32 s56, 0x2000                                      // 000000004F24: BEB800FF 00002000
	s_mul_i32 s57, s7, 0x2400                                  // 000000004F2C: 9239FF07 00002400
	s_add_u32 m0, s56, s57                                     // 000000004F34: 807C3938
	buffer_load_dwordx4 v32, s[20:23], 0 offen lds             // 000000004F38: E05D1000 80050020
	s_add_i32 m0, m0, 0x3c0                                    // 000000004F40: 817CFF7C 000003C0
	v_mfma_f32_16x16x32_bf16 v[34:37], a[76:79], a[4:7], v[34:37]// 000000004F48: D3B50022 1C8A094C
	buffer_load_dwordx4 v32, s[20:23], 0 offen offset:64 lds   // 000000004F50: E05D1040 80050020
	s_add_i32 m0, m0, 0x3c0                                    // 000000004F58: 817CFF7C 000003C0
	v_mfma_f32_16x16x32_bf16 v[34:37], a[80:83], a[8:11], v[34:37]// 000000004F60: D3B50022 1C8A1150
	v_mul_f32_e32 v16, s5, v16                                 // 000000004F68: 0A202005
	v_exp_f32_e32 v16, v16                                     // 000000004F6C: 7E204110
	v_mfma_f32_16x16x32_bf16 v[34:37], a[84:87], a[12:15], v[34:37]// 000000004F70: D3B50022 1C8A1954
	v_add_u32_e32 v26, s73, v26                                // 000000004F78: 68343449
	ds_read_b128 a[72:75], v20 offset:18432                    // 000000004F7C: DBFE4800 48000014
	ds_read_b128 a[76:79], v20 offset:19456                    // 000000004F84: DBFE4C00 4C000014
	v_fma_f32 v42, v42, s5, -v29                               // 000000004F8C: D1CB002A 84740B2A
	v_mfma_f32_16x16x32_bf16 v[34:37], a[88:91], a[16:19], v[34:37]// 000000004F94: D3B50022 1C8A2158
	ds_read_b128 a[80:83], v20 offset:20480                    // 000000004F9C: DBFE5000 50000014
	ds_read_b128 a[84:87], v20 offset:21504                    // 000000004FA4: DBFE5400 54000014
	v_fma_f32 v43, v43, s5, -v29                               // 000000004FAC: D1CB002B 84740B2B
	v_mfma_f32_16x16x32_bf16 v[34:37], a[92:95], a[20:23], v[34:37]// 000000004FB4: D3B50022 1C8A295C
	buffer_load_dwordx4 v32, s[20:23], 0 offen offset:128 lds  // 000000004FBC: E05D1080 80050020
	s_add_i32 m0, m0, 0x3c0                                    // 000000004FC4: 817CFF7C 000003C0
	v_mfma_f32_16x16x32_bf16 v[34:37], a[96:99], a[24:27], v[34:37]// 000000004FCC: D3B50022 1C8A3160
	v_fma_f32 v44, v44, s5, -v29                               // 000000004FD4: D1CB002C 84740B2C
	v_fma_f32 v45, v45, s5, -v29                               // 000000004FDC: D1CB002D 84740B2D
	v_mfma_f32_16x16x32_bf16 v[34:37], a[100:103], a[28:31], v[34:37]// 000000004FE4: D3B50022 1C8A3964
	ds_read_b128 a[88:91], v20 offset:22528                    // 000000004FEC: DBFE5800 58000014
	ds_read_b128 a[92:95], v20 offset:23552                    // 000000004FF4: DBFE5C00 5C000014
	v_fma_f32 v46, v46, s5, -v29                               // 000000004FFC: D1CB002E 84740B2E
	v_mfma_f32_16x16x32_bf16 v[34:37], a[104:107], a[32:35], v[34:37]// 000000005004: D3B50022 1C8A4168
	ds_read_b128 a[96:99], v20 offset:24576                    // 00000000500C: DBFE6000 60000014
	ds_read_b128 a[100:103], v20 offset:25600                  // 000000005014: DBFE6400 64000014
	v_fma_f32 v47, v47, s5, -v29                               // 00000000501C: D1CB002F 84740B2F
	v_mfma_f32_16x16x32_bf16 v[34:37], a[108:111], a[36:39], v[34:37]// 000000005024: D3B50022 1C8A496C
	buffer_load_dwordx4 v32, s[20:23], 0 offen offset:192 lds  // 00000000502C: E05D10C0 80050020
	s_add_i32 m0, m0, 0x3c0                                    // 000000005034: 817CFF7C 000003C0
	v_mfma_f32_16x16x32_bf16 v[34:37], a[112:115], a[40:43], v[34:37]// 00000000503C: D3B50022 1C8A5170
	v_fma_f32 v48, v48, s5, -v29                               // 000000005044: D1CB0030 84740B30
	v_fma_f32 v49, v49, s5, -v29                               // 00000000504C: D1CB0031 84740B31
	v_mfma_f32_16x16x32_bf16 v[34:37], a[116:119], a[44:47], v[34:37]// 000000005054: D3B50022 1C8A5974
	v_exp_f32_e32 v42, v42                                     // 00000000505C: 7E54412A
	v_mfma_f32_16x16x32_bf16 v[34:37], a[120:123], a[48:51], v[34:37]// 000000005060: D3B50022 1C8A6178
	ds_read_b128 a[104:107], v20 offset:26624                  // 000000005068: DBFE6800 68000014
	ds_read_b128 a[108:111], v20 offset:27648                  // 000000005070: DBFE6C00 6C000014
	v_exp_f32_e32 v43, v43                                     // 000000005078: 7E56412B
	v_mfma_f32_16x16x32_bf16 v[34:37], a[124:127], a[52:55], v[34:37]// 00000000507C: D3B50022 1C8A697C
	buffer_load_dwordx4 v32, s[20:23], 0 offen offset:256 lds  // 000000005084: E05D1100 80050020
	s_add_i32 m0, m0, 0x3c0                                    // 00000000508C: 817CFF7C 000003C0
	v_mfma_f32_16x16x32_bf16 v[34:37], a[128:131], a[56:59], v[34:37]// 000000005094: D3B50022 1C8A7180
	v_exp_f32_e32 v44, v44                                     // 00000000509C: 7E58412C
	v_mfma_f32_16x16x32_bf16 v[34:37], a[132:135], a[60:63], v[34:37]// 0000000050A0: D3B50022 1C8A7984
	ds_read_b128 a[112:115], v20 offset:28672                  // 0000000050A8: DBFE7000 70000014
	ds_read_b128 a[116:119], v20 offset:29696                  // 0000000050B0: DBFE7400 74000014
	v_exp_f32_e32 v45, v45                                     // 0000000050B8: 7E5A412D
	v_mfma_f32_16x16x32_bf16 v[34:37], a[136:139], a[64:67], v[34:37]// 0000000050BC: D3B50022 1C8A8188
	ds_read_b128 a[120:123], v20 offset:30720                  // 0000000050C4: DBFE7800 78000014
	ds_read_b128 a[124:127], v20 offset:31744                  // 0000000050CC: DBFE7C00 7C000014
	v_exp_f32_e32 v46, v46                                     // 0000000050D4: 7E5C412E
	v_mfma_f32_16x16x32_bf16 v[34:37], a[140:143], a[68:71], v[34:37]// 0000000050D8: D3B50022 1C8A898C
	ds_read_b128 a[128:131], v20 offset:32768                  // 0000000050E0: DBFE8000 80000014
	ds_read_b128 a[132:135], v20 offset:33792                  // 0000000050E8: DBFE8400 84000014
	v_exp_f32_e32 v47, v47                                     // 0000000050F0: 7E5E412F
	ds_read_b128 a[136:139], v20 offset:34816                  // 0000000050F4: DBFE8800 88000014
	ds_read_b128 a[140:143], v20 offset:35840                  // 0000000050FC: DBFE8C00 8C000014
	v_exp_f32_e32 v48, v48                                     // 000000005104: 7E604130
	v_exp_f32_e32 v49, v49                                     // 000000005108: 7E624131
	v_mul_f32_e32 v4, v16, v4                                  // 00000000510C: 0A080910
	v_mov_b32_e32 v28, v42                                     // 000000005110: 7E38032A
	v_add_f32_e32 v28, v43, v28                                // 000000005114: 0238392B
	v_add_f32_e32 v28, v44, v28                                // 000000005118: 0238392C
	v_add_f32_e32 v28, v45, v28                                // 00000000511C: 0238392D
	v_add_f32_e32 v28, v46, v28                                // 000000005120: 0238392E
	v_add_f32_e32 v28, v47, v28                                // 000000005124: 0238392F
	v_add_f32_e32 v28, v48, v28                                // 000000005128: 02383930
	v_add_f32_e32 v28, v49, v28                                // 00000000512C: 02383931
	v_add_f32_e32 v4, v28, v4                                  // 000000005130: 0208091C
	v_cvt_pk_bf16_f32 v42, v42, v43                            // 000000005134: D268002A 0002572A
	v_cvt_pk_bf16_f32 v43, v44, v45                            // 00000000513C: D268002B 00025B2C
	v_cvt_pk_bf16_f32 v44, v46, v47                            // 000000005144: D268002C 00025F2E
	v_cvt_pk_bf16_f32 v45, v48, v49                            // 00000000514C: D268002D 00026330
	s_nop 0                                                    // 000000005154: BF800000
	v_permlane32_swap_b32_e32 v42, v44                         // 000000005158: 7E54B52C
	v_permlane32_swap_b32_e32 v43, v45                         // 00000000515C: 7E56B52D
	s_nop 0                                                    // 000000005160: BF800000
	v_permlane16_swap_b32_e32 v42, v44                         // 000000005164: 7E54B32C
	v_permlane16_swap_b32_e32 v43, v45                         // 000000005168: 7E56B32D
	s_waitcnt lgkmcnt(0)                                       // 00000000516C: BF8CC07F
	v_mfma_f32_16x16x32_bf16 v[38:41], a[72:75], a[0:3], 0     // 000000005170: D3B50026 1A020148
	v_mul_f32_e32 v50, v16, v50                                // 000000005178: 0A646510
	v_mul_f32_e32 v51, v16, v51                                // 00000000517C: 0A666710
	ds_read_b64_tr_b16 a[144:145], v10                         // 000000005180: DBC60000 9000000A
	ds_read_b64_tr_b16 a[146:147], v10 offset:256              // 000000005188: DBC60100 9200000A
	v_mfma_f32_16x16x32_bf16 v[38:41], a[76:79], a[4:7], v[38:41]// 000000005190: D3B50026 1C9A094C
	buffer_load_dwordx4 v32, s[20:23], 0 offen offset:320 lds  // 000000005198: E05D1140 80050020
	s_add_i32 m0, m0, 0x3c0                                    // 0000000051A0: 817CFF7C 000003C0
	v_mul_f32_e32 v52, v16, v52                                // 0000000051A8: 0A686910
	v_mul_f32_e32 v53, v16, v53                                // 0000000051AC: 0A6A6B10
	v_mfma_f32_16x16x32_bf16 v[38:41], a[80:83], a[8:11], v[38:41]// 0000000051B0: D3B50026 1C9A1150
	v_mul_f32_e32 v54, v16, v54                                // 0000000051B8: 0A6C6D10
	v_mul_f32_e32 v55, v16, v55                                // 0000000051BC: 0A6E6F10
	ds_read_b64_tr_b16 a[148:149], v11                         // 0000000051C0: DBC60000 9400000B
	ds_read_b64_tr_b16 a[150:151], v11 offset:256              // 0000000051C8: DBC60100 9600000B
	v_mfma_f32_16x16x32_bf16 v[38:41], a[84:87], a[12:15], v[38:41]// 0000000051D0: D3B50026 1C9A1954
	v_mul_f32_e32 v56, v16, v56                                // 0000000051D8: 0A707110
	v_mul_f32_e32 v57, v16, v57                                // 0000000051DC: 0A727310
	ds_read_b64_tr_b16 a[152:153], v10 offset:1024             // 0000000051E0: DBC60400 9800000A
	ds_read_b64_tr_b16 a[154:155], v10 offset:1280             // 0000000051E8: DBC60500 9A00000A
	v_mfma_f32_16x16x32_bf16 v[38:41], a[88:91], a[16:19], v[38:41]// 0000000051F0: D3B50026 1C9A2158
	v_mul_f32_e32 v58, v16, v58                                // 0000000051F8: 0A747510
	v_mul_f32_e32 v59, v16, v59                                // 0000000051FC: 0A767710
	ds_read_b64_tr_b16 a[156:157], v11 offset:1024             // 000000005200: DBC60400 9C00000B
	ds_read_b64_tr_b16 a[158:159], v11 offset:1280             // 000000005208: DBC60500 9E00000B
	v_mfma_f32_16x16x32_bf16 v[38:41], a[92:95], a[20:23], v[38:41]// 000000005210: D3B50026 1C9A295C
	v_mul_f32_e32 v60, v16, v60                                // 000000005218: 0A787910
	v_mul_f32_e32 v61, v16, v61                                // 00000000521C: 0A7A7B10
	ds_read_b64_tr_b16 a[160:161], v10 offset:2048             // 000000005220: DBC60800 A000000A
	ds_read_b64_tr_b16 a[162:163], v10 offset:2304             // 000000005228: DBC60900 A200000A
	v_mfma_f32_16x16x32_bf16 v[38:41], a[96:99], a[24:27], v[38:41]// 000000005230: D3B50026 1C9A3160
	v_mul_f32_e32 v62, v16, v62                                // 000000005238: 0A7C7D10
	v_mul_f32_e32 v63, v16, v63                                // 00000000523C: 0A7E7F10
	ds_read_b64_tr_b16 a[164:165], v11 offset:2048             // 000000005240: DBC60800 A400000B
	ds_read_b64_tr_b16 a[166:167], v11 offset:2304             // 000000005248: DBC60900 A600000B
	v_mfma_f32_16x16x32_bf16 v[38:41], a[100:103], a[28:31], v[38:41]// 000000005250: D3B50026 1C9A3964
	buffer_load_dwordx4 v32, s[20:23], 0 offen offset:384 lds  // 000000005258: E05D1180 80050020
	s_add_i32 m0, m0, 0x3c0                                    // 000000005260: 817CFF7C 000003C0
	v_mfma_f32_16x16x32_bf16 v[38:41], a[104:107], a[32:35], v[38:41]// 000000005268: D3B50026 1C9A4168
	v_mul_f32_e32 v64, v16, v64                                // 000000005270: 0A808110
	v_mul_f32_e32 v65, v16, v65                                // 000000005274: 0A828310
	ds_read_b64_tr_b16 a[168:169], v10 offset:3072             // 000000005278: DBC60C00 A800000A
	ds_read_b64_tr_b16 a[170:171], v10 offset:3328             // 000000005280: DBC60D00 AA00000A
	v_mfma_f32_16x16x32_bf16 v[38:41], a[108:111], a[36:39], v[38:41]// 000000005288: D3B50026 1C9A496C
	v_mul_f32_e32 v66, v16, v66                                // 000000005290: 0A848510
	v_mul_f32_e32 v67, v16, v67                                // 000000005294: 0A868710
	ds_read_b64_tr_b16 a[172:173], v11 offset:3072             // 000000005298: DBC60C00 AC00000B
	ds_read_b64_tr_b16 a[174:175], v11 offset:3328             // 0000000052A0: DBC60D00 AE00000B
	v_mfma_f32_16x16x32_bf16 v[38:41], a[112:115], a[40:43], v[38:41]// 0000000052A8: D3B50026 1C9A5170
	v_mul_f32_e32 v68, v16, v68                                // 0000000052B0: 0A888910
	v_mul_f32_e32 v69, v16, v69                                // 0000000052B4: 0A8A8B10
	ds_read_b64_tr_b16 a[176:177], v10 offset:4096             // 0000000052B8: DBC61000 B000000A
	ds_read_b64_tr_b16 a[178:179], v10 offset:4352             // 0000000052C0: DBC61100 B200000A
	v_mfma_f32_16x16x32_bf16 v[38:41], a[116:119], a[44:47], v[38:41]// 0000000052C8: D3B50026 1C9A5974
	buffer_load_dwordx4 v32, s[20:23], 0 offen offset:448 lds  // 0000000052D0: E05D11C0 80050020
	s_add_i32 m0, m0, 0x3c0                                    // 0000000052D8: 817CFF7C 000003C0
	v_mul_f32_e32 v70, v16, v70                                // 0000000052E0: 0A8C8D10
	v_mul_f32_e32 v71, v16, v71                                // 0000000052E4: 0A8E8F10
	v_mfma_f32_16x16x32_bf16 v[38:41], a[120:123], a[48:51], v[38:41]// 0000000052E8: D3B50026 1C9A6178
	v_mul_f32_e32 v72, v16, v72                                // 0000000052F0: 0A909110
	v_mul_f32_e32 v73, v16, v73                                // 0000000052F4: 0A929310
	ds_read_b64_tr_b16 a[180:181], v11 offset:4096             // 0000000052F8: DBC61000 B400000B
	ds_read_b64_tr_b16 a[182:183], v11 offset:4352             // 000000005300: DBC61100 B600000B
	v_mfma_f32_16x16x32_bf16 v[38:41], a[124:127], a[52:55], v[38:41]// 000000005308: D3B50026 1C9A697C
	v_mul_f32_e32 v74, v16, v74                                // 000000005310: 0A949510
	v_mul_f32_e32 v75, v16, v75                                // 000000005314: 0A969710
	ds_read_b64_tr_b16 a[184:185], v10 offset:5120             // 000000005318: DBC61400 B800000A
	ds_read_b64_tr_b16 a[186:187], v10 offset:5376             // 000000005320: DBC61500 BA00000A
	v_mfma_f32_16x16x32_bf16 v[38:41], a[128:131], a[56:59], v[38:41]// 000000005328: D3B50026 1C9A7180
	v_mul_f32_e32 v76, v16, v76                                // 000000005330: 0A989910
	v_mul_f32_e32 v77, v16, v77                                // 000000005334: 0A9A9B10
	ds_read_b64_tr_b16 a[188:189], v11 offset:5120             // 000000005338: DBC61400 BC00000B
	ds_read_b64_tr_b16 a[190:191], v11 offset:5376             // 000000005340: DBC61500 BE00000B
	v_mfma_f32_16x16x32_bf16 v[38:41], a[132:135], a[60:63], v[38:41]// 000000005348: D3B50026 1C9A7984
	buffer_load_dwordx4 v32, s[20:23], 0 offen offset:512 lds  // 000000005350: E05D1200 80050020
	s_add_i32 m0, m0, 0x3c0                                    // 000000005358: 817CFF7C 000003C0
	v_mfma_f32_16x16x32_bf16 v[38:41], a[136:139], a[64:67], v[38:41]// 000000005360: D3B50026 1C9A8188
	v_mul_f32_e32 v78, v16, v78                                // 000000005368: 0A9C9D10
	v_mul_f32_e32 v79, v16, v79                                // 00000000536C: 0A9E9F10
	ds_read_b64_tr_b16 a[192:193], v10 offset:6144             // 000000005370: DBC61800 C000000A
	ds_read_b64_tr_b16 a[194:195], v10 offset:6400             // 000000005378: DBC61900 C200000A
	ds_read_b64_tr_b16 a[196:197], v11 offset:6144             // 000000005380: DBC61800 C400000B
	ds_read_b64_tr_b16 a[198:199], v11 offset:6400             // 000000005388: DBC61900 C600000B
	ds_read_b64_tr_b16 a[200:201], v10 offset:7168             // 000000005390: DBC61C00 C800000A
	ds_read_b64_tr_b16 a[202:203], v10 offset:7424             // 000000005398: DBC61D00 CA00000A
	ds_read_b64_tr_b16 a[204:205], v11 offset:7168             // 0000000053A0: DBC61C00 CC00000B
	ds_read_b64_tr_b16 a[206:207], v11 offset:7424             // 0000000053A8: DBC61D00 CE00000B
	v_mov_b32_e32 v30, v16                                     // 0000000053B0: 7E3C0310
	v_mov_b32_e32 v31, v16                                     // 0000000053B4: 7E3E0310
	v_pk_mul_f32 v[80:81], v[30:31], v[80:81]                  // 0000000053B8: D3B14050 1802A11E
	v_pk_mul_f32 v[82:83], v[30:31], v[82:83]                  // 0000000053C0: D3B14052 1802A51E
	v_pk_mul_f32 v[84:85], v[30:31], v[84:85]                  // 0000000053C8: D3B14054 1802A91E
	v_pk_mul_f32 v[86:87], v[30:31], v[86:87]                  // 0000000053D0: D3B14056 1802AD1E
	v_pk_mul_f32 v[88:89], v[30:31], v[88:89]                  // 0000000053D8: D3B14058 1802B11E
	v_pk_mul_f32 v[90:91], v[30:31], v[90:91]                  // 0000000053E0: D3B1405A 1802B51E
	v_pk_mul_f32 v[92:93], v[30:31], v[92:93]                  // 0000000053E8: D3B1405C 1802B91E
	v_pk_mul_f32 v[94:95], v[30:31], v[94:95]                  // 0000000053F0: D3B1405E 1802BD1E
	v_pk_mul_f32 v[96:97], v[30:31], v[96:97]                  // 0000000053F8: D3B14060 1802C11E
	v_pk_mul_f32 v[98:99], v[30:31], v[98:99]                  // 000000005400: D3B14062 1802C51E
	v_pk_mul_f32 v[100:101], v[30:31], v[100:101]              // 000000005408: D3B14064 1802C91E
	v_pk_mul_f32 v[102:103], v[30:31], v[102:103]              // 000000005410: D3B14066 1802CD1E
	v_pk_mul_f32 v[104:105], v[30:31], v[104:105]              // 000000005418: D3B14068 1802D11E
	v_pk_mul_f32 v[106:107], v[30:31], v[106:107]              // 000000005420: D3B1406A 1802D51E
	v_pk_mul_f32 v[108:109], v[30:31], v[108:109]              // 000000005428: D3B1406C 1802D91E
	v_pk_mul_f32 v[110:111], v[30:31], v[110:111]              // 000000005430: D3B1406E 1802DD1E
	v_pk_mul_f32 v[112:113], v[30:31], v[112:113]              // 000000005438: D3B14070 1802E11E
	v_pk_mul_f32 v[114:115], v[30:31], v[114:115]              // 000000005440: D3B14072 1802E51E
	v_pk_mul_f32 v[116:117], v[30:31], v[116:117]              // 000000005448: D3B14074 1802E91E
	v_pk_mul_f32 v[118:119], v[30:31], v[118:119]              // 000000005450: D3B14076 1802ED1E
	v_pk_mul_f32 v[120:121], v[30:31], v[120:121]              // 000000005458: D3B14078 1802F11E
	v_pk_mul_f32 v[122:123], v[30:31], v[122:123]              // 000000005460: D3B1407A 1802F51E
	v_pk_mul_f32 v[124:125], v[30:31], v[124:125]              // 000000005468: D3B1407C 1802F91E
	v_pk_mul_f32 v[126:127], v[30:31], v[126:127]              // 000000005470: D3B1407E 1802FD1E
	v_pk_mul_f32 v[128:129], v[30:31], v[128:129]              // 000000005478: D3B14080 1803011E
	v_pk_mul_f32 v[130:131], v[30:31], v[130:131]              // 000000005480: D3B14082 1803051E
	v_pk_mul_f32 v[132:133], v[30:31], v[132:133]              // 000000005488: D3B14084 1803091E
	v_pk_mul_f32 v[134:135], v[30:31], v[134:135]              // 000000005490: D3B14086 18030D1E
	v_pk_mul_f32 v[136:137], v[30:31], v[136:137]              // 000000005498: D3B14088 1803111E
	v_pk_mul_f32 v[138:139], v[30:31], v[138:139]              // 0000000054A0: D3B1408A 1803151E
	v_pk_mul_f32 v[140:141], v[30:31], v[140:141]              // 0000000054A8: D3B1408C 1803191E
	v_pk_mul_f32 v[142:143], v[30:31], v[142:143]              // 0000000054B0: D3B1408E 18031D1E
	v_pk_mul_f32 v[144:145], v[30:31], v[144:145]              // 0000000054B8: D3B14090 1803211E
	v_pk_mul_f32 v[146:147], v[30:31], v[146:147]              // 0000000054C0: D3B14092 1803251E
	v_pk_mul_f32 v[148:149], v[30:31], v[148:149]              // 0000000054C8: D3B14094 1803291E
	v_pk_mul_f32 v[150:151], v[30:31], v[150:151]              // 0000000054D0: D3B14096 18032D1E
	v_pk_mul_f32 v[152:153], v[30:31], v[152:153]              // 0000000054D8: D3B14098 1803311E
	v_pk_mul_f32 v[154:155], v[30:31], v[154:155]              // 0000000054E0: D3B1409A 1803351E
	v_pk_mul_f32 v[156:157], v[30:31], v[156:157]              // 0000000054E8: D3B1409C 1803391E
	v_pk_mul_f32 v[158:159], v[30:31], v[158:159]              // 0000000054F0: D3B1409E 18033D1E
	v_pk_mul_f32 v[160:161], v[30:31], v[160:161]              // 0000000054F8: D3B140A0 1803411E
	v_pk_mul_f32 v[162:163], v[30:31], v[162:163]              // 000000005500: D3B140A2 1803451E
	v_pk_mul_f32 v[164:165], v[30:31], v[164:165]              // 000000005508: D3B140A4 1803491E
	v_pk_mul_f32 v[166:167], v[30:31], v[166:167]              // 000000005510: D3B140A6 18034D1E
	v_pk_mul_f32 v[168:169], v[30:31], v[168:169]              // 000000005518: D3B140A8 1803511E
	v_pk_mul_f32 v[170:171], v[30:31], v[170:171]              // 000000005520: D3B140AA 1803551E
	v_pk_mul_f32 v[172:173], v[30:31], v[172:173]              // 000000005528: D3B140AC 1803591E
	v_pk_mul_f32 v[174:175], v[30:31], v[174:175]              // 000000005530: D3B140AE 18035D1E
	v_pk_mul_f32 v[176:177], v[30:31], v[176:177]              // 000000005538: D3B140B0 1803611E
	v_mfma_f32_16x16x32_bf16 v[38:41], a[140:143], a[68:71], v[38:41]// 000000005540: D3B50026 1C9A898C
	s_addk_i32 s70, 0x1                                        // 000000005548: B7460001
	s_cmp_lt_i32 s70, s71                                      // 00000000554C: BF044746
	s_cbranch_scc0 label_39C8                                  // 000000005550: BF84025D
	s_waitcnt lgkmcnt(0)                                       // 000000005554: BF8CC07F
	v_mul_u32_u24_e64 v32, v25, s68                            // 000000005558: D1080020 00008919
	v_add_u32_e32 v32, v32, v1                                 // 000000005560: 68400320
	v_mfma_f32_16x16x32_bf16 v[50:53], a[144:147], v[42:45], v[50:53]// 000000005564: D3B50032 0CCA5590
	v_mov_b32_e32 v29, v34                                     // 00000000556C: 7E3A0322
	v_max3_f32 v29, v34, v35, v29                              // 000000005570: D1D3001D 04764722
	v_mfma_f32_16x16x32_bf16 v[54:57], a[148:151], v[42:45], v[54:57]// 000000005578: D3B50036 0CDA5594
	ds_read_b64_tr_b16 a[144:145], v10 offset:8192             // 000000005580: DBC62000 9000000A
	ds_read_b64_tr_b16 a[146:147], v10 offset:8448             // 000000005588: DBC62100 9200000A
	v_mfma_f32_16x16x32_bf16 v[58:61], a[152:155], v[42:45], v[58:61]// 000000005590: D3B5003A 0CEA5598
	v_max3_f32 v29, v36, v37, v29                              // 000000005598: D1D3001D 04764B24
	v_max3_f32 v29, v38, v39, v29                              // 0000000055A0: D1D3001D 04764F26
	v_mfma_f32_16x16x32_bf16 v[62:65], a[156:159], v[42:45], v[62:65]// 0000000055A8: D3B5003E 0CFA559C
	ds_read_b64_tr_b16 a[148:149], v11 offset:8192             // 0000000055B0: DBC62000 9400000B
	ds_read_b64_tr_b16 a[150:151], v11 offset:8448             // 0000000055B8: DBC62100 9600000B
	v_mfma_f32_16x16x32_bf16 v[66:69], a[160:163], v[42:45], v[66:69]// 0000000055C0: D3B50042 0D0A55A0
	v_max3_f32 v29, v40, v41, v29                              // 0000000055C8: D1D3001D 04765328
	v_mov_b32_e32 v28, v29                                     // 0000000055D0: 7E38031D
	v_mfma_f32_16x16x32_bf16 v[70:73], a[164:167], v[42:45], v[70:73]// 0000000055D4: D3B50046 0D1A55A4
	ds_read_b64_tr_b16 a[152:153], v10 offset:9216             // 0000000055DC: DBC62400 9800000A
	ds_read_b64_tr_b16 a[154:155], v10 offset:9472             // 0000000055E4: DBC62500 9A00000A
	v_mfma_f32_16x16x32_bf16 v[74:77], a[168:171], v[42:45], v[74:77]// 0000000055EC: D3B5004A 0D2A55A8
	v_mov_b32_e32 v29, v29                                     // 0000000055F4: 7E3A031D
	s_nop 1                                                    // 0000000055F8: BF800001
	v_mfma_f32_16x16x32_bf16 v[78:81], a[172:175], v[42:45], v[78:81]// 0000000055FC: D3B5004E 0D3A55AC
	ds_read_b64_tr_b16 a[156:157], v11 offset:9216             // 000000005604: DBC62400 9C00000B
	ds_read_b64_tr_b16 a[158:159], v11 offset:9472             // 00000000560C: DBC62500 9E00000B
	v_mfma_f32_16x16x32_bf16 v[82:85], a[176:179], v[42:45], v[82:85]// 000000005614: D3B50052 0D4A55B0
	v_permlane16_swap_b32_e32 v28, v29                         // 00000000561C: 7E38B31D
	v_mfma_f32_16x16x32_bf16 v[86:89], a[180:183], v[42:45], v[86:89]// 000000005620: D3B50056 0D5A55B4
	ds_read_b64_tr_b16 a[160:161], v10 offset:10240            // 000000005628: DBC62800 A000000A
	ds_read_b64_tr_b16 a[162:163], v10 offset:10496            // 000000005630: DBC62900 A200000A
	v_mfma_f32_16x16x32_bf16 v[90:93], a[184:187], v[42:45], v[90:93]// 000000005638: D3B5005A 0D6A55B8
	v_mov_b32_e32 v31, v28                                     // 000000005640: 7E3E031C
	v_mov_b32_e32 v30, v29                                     // 000000005644: 7E3C031D
	v_mfma_f32_16x16x32_bf16 v[94:97], a[188:191], v[42:45], v[94:97]// 000000005648: D3B5005E 0D7A55BC
	ds_read_b64_tr_b16 a[164:165], v11 offset:10240            // 000000005650: DBC62800 A400000B
	ds_read_b64_tr_b16 a[166:167], v11 offset:10496            // 000000005658: DBC62900 A600000B
	v_mfma_f32_16x16x32_bf16 v[98:101], a[192:195], v[42:45], v[98:101]// 000000005660: D3B50062 0D8A55C0
	s_nop 1                                                    // 000000005668: BF800001
	v_permlane32_swap_b32_e32 v28, v29                         // 00000000566C: 7E38B51D
	v_mfma_f32_16x16x32_bf16 v[102:105], a[196:199], v[42:45], v[102:105]// 000000005670: D3B50066 0D9A55C4
	ds_read_b64_tr_b16 a[168:169], v10 offset:11264            // 000000005678: DBC62C00 A800000A
	ds_read_b64_tr_b16 a[170:171], v10 offset:11520            // 000000005680: DBC62D00 AA00000A
	v_mfma_f32_16x16x32_bf16 v[106:109], a[200:203], v[42:45], v[106:109]// 000000005688: D3B5006A 0DAA55C8
	v_permlane32_swap_b32_e32 v30, v31                         // 000000005690: 7E3CB51F
	v_mfma_f32_16x16x32_bf16 v[110:113], a[204:207], v[42:45], v[110:113]// 000000005694: D3B5006E 0DBA55CC
	ds_read_b64_tr_b16 a[172:173], v11 offset:11264            // 00000000569C: DBC62C00 AC00000B
	ds_read_b64_tr_b16 a[174:175], v11 offset:11520            // 0000000056A4: DBC62D00 AE00000B
	ds_read_b64_tr_b16 a[176:177], v10 offset:12288            // 0000000056AC: DBC63000 B000000A
	ds_read_b64_tr_b16 a[178:179], v10 offset:12544            // 0000000056B4: DBC63100 B200000A
	ds_read_b64_tr_b16 a[180:181], v11 offset:12288            // 0000000056BC: DBC63000 B400000B
	ds_read_b64_tr_b16 a[182:183], v11 offset:12544            // 0000000056C4: DBC63100 B600000B
	ds_read_b64_tr_b16 a[184:185], v10 offset:13312            // 0000000056CC: DBC63400 B800000A
	ds_read_b64_tr_b16 a[186:187], v10 offset:13568            // 0000000056D4: DBC63500 BA00000A
	ds_read_b64_tr_b16 a[188:189], v11 offset:13312            // 0000000056DC: DBC63400 BC00000B
	ds_read_b64_tr_b16 a[190:191], v11 offset:13568            // 0000000056E4: DBC63500 BE00000B
	s_waitcnt lgkmcnt(0)                                       // 0000000056EC: BF8CC07F
	v_mfma_f32_16x16x32_bf16 v[114:117], a[144:147], v[42:45], v[114:117]// 0000000056F0: D3B50072 0DCA5590
	ds_read_b64_tr_b16 a[192:193], v10 offset:14336            // 0000000056F8: DBC63800 C000000A
	ds_read_b64_tr_b16 a[194:195], v10 offset:14592            // 000000005700: DBC63900 C200000A
	v_mfma_f32_16x16x32_bf16 v[118:121], a[148:151], v[42:45], v[118:121]// 000000005708: D3B50076 0DDA5594
	s_waitcnt vmcnt(10)                                        // 000000005710: BF8C0F7A
	s_barrier                                                  // 000000005714: BF8A0000
	ds_read_b128 a[72:75], v21                                 // 000000005718: DBFE0000 48000015
	ds_read_b128 a[76:79], v21 offset:1024                     // 000000005720: DBFE0400 4C000015
	v_mfma_f32_16x16x32_bf16 v[122:125], a[152:155], v[42:45], v[122:125]// 000000005728: D3B5007A 0DEA5598
	ds_read_b64_tr_b16 a[196:197], v11 offset:14336            // 000000005730: DBC63800 C400000B
	ds_read_b64_tr_b16 a[198:199], v11 offset:14592            // 000000005738: DBC63900 C600000B
	v_mfma_f32_16x16x32_bf16 v[126:129], a[156:159], v[42:45], v[126:129]// 000000005740: D3B5007E 0DFA559C
	ds_read_b128 a[80:83], v21 offset:2048                     // 000000005748: DBFE0800 50000015
	ds_read_b128 a[84:87], v21 offset:3072                     // 000000005750: DBFE0C00 54000015
	v_mfma_f32_16x16x32_bf16 v[130:133], a[160:163], v[42:45], v[130:133]// 000000005758: D3B50082 0E0A55A0
	ds_read_b64_tr_b16 a[200:201], v10 offset:15360            // 000000005760: DBC63C00 C800000A
	ds_read_b64_tr_b16 a[202:203], v10 offset:15616            // 000000005768: DBC63D00 CA00000A
	v_mfma_f32_16x16x32_bf16 v[134:137], a[164:167], v[42:45], v[134:137]// 000000005770: D3B50086 0E1A55A4
	ds_read_b128 a[88:91], v21 offset:4096                     // 000000005778: DBFE1000 58000015
	ds_read_b128 a[92:95], v21 offset:5120                     // 000000005780: DBFE1400 5C000015
	v_mfma_f32_16x16x32_bf16 v[138:141], a[168:171], v[42:45], v[138:141]// 000000005788: D3B5008A 0E2A55A8
	ds_read_b64_tr_b16 a[204:205], v11 offset:15360            // 000000005790: DBC63C00 CC00000B
	ds_read_b64_tr_b16 a[206:207], v11 offset:15616            // 000000005798: DBC63D00 CE00000B
	v_mfma_f32_16x16x32_bf16 v[142:145], a[172:175], v[42:45], v[142:145]// 0000000057A0: D3B5008E 0E3A55AC
	ds_read_b128 a[96:99], v21 offset:6144                     // 0000000057A8: DBFE1800 60000015
	ds_read_b128 a[100:103], v21 offset:7168                   // 0000000057B0: DBFE1C00 64000015
	v_mfma_f32_16x16x32_bf16 v[146:149], a[176:179], v[42:45], v[146:149]// 0000000057B8: D3B50092 0E4A55B0
	v_max3_f32 v29, v28, v29, v29                              // 0000000057C0: D1D3001D 04763B1C
	v_max3_f32 v29, v30, v31, v29                              // 0000000057C8: D1D3001D 04763F1E
	v_mfma_f32_16x16x32_bf16 v[150:153], a[180:183], v[42:45], v[150:153]// 0000000057D0: D3B50096 0E5A55B4
	ds_read_b128 a[104:107], v21 offset:8192                   // 0000000057D8: DBFE2000 68000015
	ds_read_b128 a[108:111], v21 offset:9216                   // 0000000057E0: DBFE2400 6C000015
	v_mfma_f32_16x16x32_bf16 v[154:157], a[184:187], v[42:45], v[154:157]// 0000000057E8: D3B5009A 0E6A55B8
	v_mov_b32_e32 v28, 0xff800000                              // 0000000057F0: 7E3802FF FF800000
	v_cmp_eq_u32_e64 s[36:37], v28, v2                         // 0000000057F8: D0CA0024 0002051C
	v_mfma_f32_16x16x32_bf16 v[158:161], a[188:191], v[42:45], v[158:161]// 000000005800: D3B5009E 0E7A55BC
	ds_read_b128 a[112:115], v21 offset:10240                  // 000000005808: DBFE2800 70000015
	ds_read_b128 a[116:119], v21 offset:11264                  // 000000005810: DBFE2C00 74000015
	v_mfma_f32_16x16x32_bf16 v[162:165], a[192:195], v[42:45], v[162:165]// 000000005818: D3B500A2 0E8A55C0
	v_max_f32_e32 v29, v29, v2                                 // 000000005820: 163A051D
	v_sub_f32_e32 v16, v2, v29                                 // 000000005824: 04203B02
	v_mfma_f32_16x16x32_bf16 v[166:169], a[196:199], v[42:45], v[166:169]// 000000005828: D3B500A6 0E9A55C4
	ds_read_b128 a[120:123], v21 offset:12288                  // 000000005830: DBFE3000 78000015
	ds_read_b128 a[124:127], v21 offset:13312                  // 000000005838: DBFE3400 7C000015
	v_mfma_f32_16x16x32_bf16 v[170:173], a[200:203], v[42:45], v[170:173]// 000000005840: D3B500AA 0EAA55C8
	v_cndmask_b32_e64 v16, v16, 0, s[36:37]                    // 000000005848: D1000010 00910110
	v_mov_b32_e32 v2, v29                                      // 000000005850: 7E04031D
	v_mfma_f32_16x16x32_bf16 v[174:177], a[204:207], v[42:45], v[174:177]// 000000005854: D3B500AE 0EBA55CC
	ds_read_b128 a[128:131], v21 offset:14336                  // 00000000585C: DBFE3800 80000015
	ds_read_b128 a[132:135], v21 offset:15360                  // 000000005864: DBFE3C00 84000015
	ds_read_b128 a[136:139], v21 offset:16384                  // 00000000586C: DBFE4000 88000015
	ds_read_b128 a[140:143], v21 offset:17408                  // 000000005874: DBFE4400 8C000015
	s_waitcnt lgkmcnt(0)                                       // 00000000587C: BF8CC07F
	v_mfma_f32_16x16x32_bf16 v[42:45], a[72:75], a[0:3], 0     // 000000005880: D3B5002A 1A020148
	buffer_load_dword v23, v26, s[24:27], 0 offen              // 000000005888: E0501000 8006171A
	v_mul_f32_e32 v29, s5, v29                                 // 000000005890: 0A3A3A05
	s_mov_b32 s56, 0xb000                                      // 000000005894: BEB800FF 0000B000
	s_mul_i32 s57, s7, 0x2400                                  // 00000000589C: 9239FF07 00002400
	s_add_u32 m0, s56, s57                                     // 0000000058A4: 807C3938
	buffer_load_dwordx4 v32, s[20:23], 0 offen lds             // 0000000058A8: E05D1000 80050020
	s_add_i32 m0, m0, 0x3c0                                    // 0000000058B0: 817CFF7C 000003C0
	v_mfma_f32_16x16x32_bf16 v[42:45], a[76:79], a[4:7], v[42:45]// 0000000058B8: D3B5002A 1CAA094C
	buffer_load_dwordx4 v32, s[20:23], 0 offen offset:64 lds   // 0000000058C0: E05D1040 80050020
	s_add_i32 m0, m0, 0x3c0                                    // 0000000058C8: 817CFF7C 000003C0
	v_mfma_f32_16x16x32_bf16 v[42:45], a[80:83], a[8:11], v[42:45]// 0000000058D0: D3B5002A 1CAA1150
	v_mul_f32_e32 v16, s5, v16                                 // 0000000058D8: 0A202005
	v_exp_f32_e32 v16, v16                                     // 0000000058DC: 7E204110
	v_mfma_f32_16x16x32_bf16 v[42:45], a[84:87], a[12:15], v[42:45]// 0000000058E0: D3B5002A 1CAA1954
	v_add_u32_e32 v26, s73, v26                                // 0000000058E8: 68343449
	ds_read_b128 a[72:75], v21 offset:18432                    // 0000000058EC: DBFE4800 48000015
	ds_read_b128 a[76:79], v21 offset:19456                    // 0000000058F4: DBFE4C00 4C000015
	v_fma_f32 v34, v34, s5, -v29                               // 0000000058FC: D1CB0022 84740B22
	v_mfma_f32_16x16x32_bf16 v[42:45], a[88:91], a[16:19], v[42:45]// 000000005904: D3B5002A 1CAA2158
	ds_read_b128 a[80:83], v21 offset:20480                    // 00000000590C: DBFE5000 50000015
	ds_read_b128 a[84:87], v21 offset:21504                    // 000000005914: DBFE5400 54000015
	v_fma_f32 v35, v35, s5, -v29                               // 00000000591C: D1CB0023 84740B23
	v_mfma_f32_16x16x32_bf16 v[42:45], a[92:95], a[20:23], v[42:45]// 000000005924: D3B5002A 1CAA295C
	buffer_load_dwordx4 v32, s[20:23], 0 offen offset:128 lds  // 00000000592C: E05D1080 80050020
	s_add_i32 m0, m0, 0x3c0                                    // 000000005934: 817CFF7C 000003C0
	v_mfma_f32_16x16x32_bf16 v[42:45], a[96:99], a[24:27], v[42:45]// 00000000593C: D3B5002A 1CAA3160
	v_fma_f32 v36, v36, s5, -v29                               // 000000005944: D1CB0024 84740B24
	v_fma_f32 v37, v37, s5, -v29                               // 00000000594C: D1CB0025 84740B25
	v_mfma_f32_16x16x32_bf16 v[42:45], a[100:103], a[28:31], v[42:45]// 000000005954: D3B5002A 1CAA3964
	ds_read_b128 a[88:91], v21 offset:22528                    // 00000000595C: DBFE5800 58000015
	ds_read_b128 a[92:95], v21 offset:23552                    // 000000005964: DBFE5C00 5C000015
	v_fma_f32 v38, v38, s5, -v29                               // 00000000596C: D1CB0026 84740B26
	v_mfma_f32_16x16x32_bf16 v[42:45], a[104:107], a[32:35], v[42:45]// 000000005974: D3B5002A 1CAA4168
	ds_read_b128 a[96:99], v21 offset:24576                    // 00000000597C: DBFE6000 60000015
	ds_read_b128 a[100:103], v21 offset:25600                  // 000000005984: DBFE6400 64000015
	v_fma_f32 v39, v39, s5, -v29                               // 00000000598C: D1CB0027 84740B27
	v_mfma_f32_16x16x32_bf16 v[42:45], a[108:111], a[36:39], v[42:45]// 000000005994: D3B5002A 1CAA496C
	buffer_load_dwordx4 v32, s[20:23], 0 offen offset:192 lds  // 00000000599C: E05D10C0 80050020
	s_add_i32 m0, m0, 0x3c0                                    // 0000000059A4: 817CFF7C 000003C0
	v_mfma_f32_16x16x32_bf16 v[42:45], a[112:115], a[40:43], v[42:45]// 0000000059AC: D3B5002A 1CAA5170
	v_fma_f32 v40, v40, s5, -v29                               // 0000000059B4: D1CB0028 84740B28
	v_fma_f32 v41, v41, s5, -v29                               // 0000000059BC: D1CB0029 84740B29
	v_mfma_f32_16x16x32_bf16 v[42:45], a[116:119], a[44:47], v[42:45]// 0000000059C4: D3B5002A 1CAA5974
	v_exp_f32_e32 v34, v34                                     // 0000000059CC: 7E444122
	v_mfma_f32_16x16x32_bf16 v[42:45], a[120:123], a[48:51], v[42:45]// 0000000059D0: D3B5002A 1CAA6178
	ds_read_b128 a[104:107], v21 offset:26624                  // 0000000059D8: DBFE6800 68000015
	ds_read_b128 a[108:111], v21 offset:27648                  // 0000000059E0: DBFE6C00 6C000015
	v_exp_f32_e32 v35, v35                                     // 0000000059E8: 7E464123
	v_mfma_f32_16x16x32_bf16 v[42:45], a[124:127], a[52:55], v[42:45]// 0000000059EC: D3B5002A 1CAA697C
	buffer_load_dwordx4 v32, s[20:23], 0 offen offset:256 lds  // 0000000059F4: E05D1100 80050020
	s_add_i32 m0, m0, 0x3c0                                    // 0000000059FC: 817CFF7C 000003C0
	v_mfma_f32_16x16x32_bf16 v[42:45], a[128:131], a[56:59], v[42:45]// 000000005A04: D3B5002A 1CAA7180
	v_exp_f32_e32 v36, v36                                     // 000000005A0C: 7E484124
	v_mfma_f32_16x16x32_bf16 v[42:45], a[132:135], a[60:63], v[42:45]// 000000005A10: D3B5002A 1CAA7984
	ds_read_b128 a[112:115], v21 offset:28672                  // 000000005A18: DBFE7000 70000015
	ds_read_b128 a[116:119], v21 offset:29696                  // 000000005A20: DBFE7400 74000015
	v_exp_f32_e32 v37, v37                                     // 000000005A28: 7E4A4125
	v_mfma_f32_16x16x32_bf16 v[42:45], a[136:139], a[64:67], v[42:45]// 000000005A2C: D3B5002A 1CAA8188
	ds_read_b128 a[120:123], v21 offset:30720                  // 000000005A34: DBFE7800 78000015
	ds_read_b128 a[124:127], v21 offset:31744                  // 000000005A3C: DBFE7C00 7C000015
	v_exp_f32_e32 v38, v38                                     // 000000005A44: 7E4C4126
	v_mfma_f32_16x16x32_bf16 v[42:45], a[140:143], a[68:71], v[42:45]// 000000005A48: D3B5002A 1CAA898C
	ds_read_b128 a[128:131], v21 offset:32768                  // 000000005A50: DBFE8000 80000015
	ds_read_b128 a[132:135], v21 offset:33792                  // 000000005A58: DBFE8400 84000015
	v_exp_f32_e32 v39, v39                                     // 000000005A60: 7E4E4127
	ds_read_b128 a[136:139], v21 offset:34816                  // 000000005A64: DBFE8800 88000015
	ds_read_b128 a[140:143], v21 offset:35840                  // 000000005A6C: DBFE8C00 8C000015
	v_exp_f32_e32 v40, v40                                     // 000000005A74: 7E504128
	v_exp_f32_e32 v41, v41                                     // 000000005A78: 7E524129
	v_mul_f32_e32 v4, v16, v4                                  // 000000005A7C: 0A080910
	v_mov_b32_e32 v28, v34                                     // 000000005A80: 7E380322
	v_add_f32_e32 v28, v35, v28                                // 000000005A84: 02383923
	v_add_f32_e32 v28, v36, v28                                // 000000005A88: 02383924
	v_add_f32_e32 v28, v37, v28                                // 000000005A8C: 02383925
	v_add_f32_e32 v28, v38, v28                                // 000000005A90: 02383926
	v_add_f32_e32 v28, v39, v28                                // 000000005A94: 02383927
	v_add_f32_e32 v28, v40, v28                                // 000000005A98: 02383928
	v_add_f32_e32 v28, v41, v28                                // 000000005A9C: 02383929
	v_add_f32_e32 v4, v28, v4                                  // 000000005AA0: 0208091C
	v_cvt_pk_bf16_f32 v34, v34, v35                            // 000000005AA4: D2680022 00024722
	v_cvt_pk_bf16_f32 v35, v36, v37                            // 000000005AAC: D2680023 00024B24
	v_cvt_pk_bf16_f32 v36, v38, v39                            // 000000005AB4: D2680024 00024F26
	v_cvt_pk_bf16_f32 v37, v40, v41                            // 000000005ABC: D2680025 00025328
	s_nop 0                                                    // 000000005AC4: BF800000
	v_permlane32_swap_b32_e32 v34, v36                         // 000000005AC8: 7E44B524
	v_permlane32_swap_b32_e32 v35, v37                         // 000000005ACC: 7E46B525
	s_nop 0                                                    // 000000005AD0: BF800000
	v_permlane16_swap_b32_e32 v34, v36                         // 000000005AD4: 7E44B324
	v_permlane16_swap_b32_e32 v35, v37                         // 000000005AD8: 7E46B325
	s_waitcnt lgkmcnt(0)                                       // 000000005ADC: BF8CC07F
	v_mfma_f32_16x16x32_bf16 v[46:49], a[72:75], a[0:3], 0     // 000000005AE0: D3B5002E 1A020148
	v_mul_f32_e32 v50, v16, v50                                // 000000005AE8: 0A646510
	v_mul_f32_e32 v51, v16, v51                                // 000000005AEC: 0A666710
	ds_read_b64_tr_b16 a[144:145], v12                         // 000000005AF0: DBC60000 9000000C
	ds_read_b64_tr_b16 a[146:147], v12 offset:256              // 000000005AF8: DBC60100 9200000C
	v_mfma_f32_16x16x32_bf16 v[46:49], a[76:79], a[4:7], v[46:49]// 000000005B00: D3B5002E 1CBA094C
	buffer_load_dwordx4 v32, s[20:23], 0 offen offset:320 lds  // 000000005B08: E05D1140 80050020
	s_add_i32 m0, m0, 0x3c0                                    // 000000005B10: 817CFF7C 000003C0
	v_mul_f32_e32 v52, v16, v52                                // 000000005B18: 0A686910
	v_mul_f32_e32 v53, v16, v53                                // 000000005B1C: 0A6A6B10
	v_mfma_f32_16x16x32_bf16 v[46:49], a[80:83], a[8:11], v[46:49]// 000000005B20: D3B5002E 1CBA1150
	v_mul_f32_e32 v54, v16, v54                                // 000000005B28: 0A6C6D10
	v_mul_f32_e32 v55, v16, v55                                // 000000005B2C: 0A6E6F10
	ds_read_b64_tr_b16 a[148:149], v13                         // 000000005B30: DBC60000 9400000D
	ds_read_b64_tr_b16 a[150:151], v13 offset:256              // 000000005B38: DBC60100 9600000D
	v_mfma_f32_16x16x32_bf16 v[46:49], a[84:87], a[12:15], v[46:49]// 000000005B40: D3B5002E 1CBA1954
	v_mul_f32_e32 v56, v16, v56                                // 000000005B48: 0A707110
	v_mul_f32_e32 v57, v16, v57                                // 000000005B4C: 0A727310
	ds_read_b64_tr_b16 a[152:153], v12 offset:1024             // 000000005B50: DBC60400 9800000C
	ds_read_b64_tr_b16 a[154:155], v12 offset:1280             // 000000005B58: DBC60500 9A00000C
	v_mfma_f32_16x16x32_bf16 v[46:49], a[88:91], a[16:19], v[46:49]// 000000005B60: D3B5002E 1CBA2158
	v_mul_f32_e32 v58, v16, v58                                // 000000005B68: 0A747510
	v_mul_f32_e32 v59, v16, v59                                // 000000005B6C: 0A767710
	ds_read_b64_tr_b16 a[156:157], v13 offset:1024             // 000000005B70: DBC60400 9C00000D
	ds_read_b64_tr_b16 a[158:159], v13 offset:1280             // 000000005B78: DBC60500 9E00000D
	v_mfma_f32_16x16x32_bf16 v[46:49], a[92:95], a[20:23], v[46:49]// 000000005B80: D3B5002E 1CBA295C
	v_mul_f32_e32 v60, v16, v60                                // 000000005B88: 0A787910
	v_mul_f32_e32 v61, v16, v61                                // 000000005B8C: 0A7A7B10
	ds_read_b64_tr_b16 a[160:161], v12 offset:2048             // 000000005B90: DBC60800 A000000C
	ds_read_b64_tr_b16 a[162:163], v12 offset:2304             // 000000005B98: DBC60900 A200000C
	v_mfma_f32_16x16x32_bf16 v[46:49], a[96:99], a[24:27], v[46:49]// 000000005BA0: D3B5002E 1CBA3160
	v_mul_f32_e32 v62, v16, v62                                // 000000005BA8: 0A7C7D10
	v_mul_f32_e32 v63, v16, v63                                // 000000005BAC: 0A7E7F10
	ds_read_b64_tr_b16 a[164:165], v13 offset:2048             // 000000005BB0: DBC60800 A400000D
	ds_read_b64_tr_b16 a[166:167], v13 offset:2304             // 000000005BB8: DBC60900 A600000D
	v_mfma_f32_16x16x32_bf16 v[46:49], a[100:103], a[28:31], v[46:49]// 000000005BC0: D3B5002E 1CBA3964
	buffer_load_dwordx4 v32, s[20:23], 0 offen offset:384 lds  // 000000005BC8: E05D1180 80050020
	s_add_i32 m0, m0, 0x3c0                                    // 000000005BD0: 817CFF7C 000003C0
	v_mfma_f32_16x16x32_bf16 v[46:49], a[104:107], a[32:35], v[46:49]// 000000005BD8: D3B5002E 1CBA4168
	v_mul_f32_e32 v64, v16, v64                                // 000000005BE0: 0A808110
	v_mul_f32_e32 v65, v16, v65                                // 000000005BE4: 0A828310
	ds_read_b64_tr_b16 a[168:169], v12 offset:3072             // 000000005BE8: DBC60C00 A800000C
	ds_read_b64_tr_b16 a[170:171], v12 offset:3328             // 000000005BF0: DBC60D00 AA00000C
	v_mfma_f32_16x16x32_bf16 v[46:49], a[108:111], a[36:39], v[46:49]// 000000005BF8: D3B5002E 1CBA496C
	v_mul_f32_e32 v66, v16, v66                                // 000000005C00: 0A848510
	v_mul_f32_e32 v67, v16, v67                                // 000000005C04: 0A868710
	ds_read_b64_tr_b16 a[172:173], v13 offset:3072             // 000000005C08: DBC60C00 AC00000D
	ds_read_b64_tr_b16 a[174:175], v13 offset:3328             // 000000005C10: DBC60D00 AE00000D
	v_mfma_f32_16x16x32_bf16 v[46:49], a[112:115], a[40:43], v[46:49]// 000000005C18: D3B5002E 1CBA5170
	v_mul_f32_e32 v68, v16, v68                                // 000000005C20: 0A888910
	v_mul_f32_e32 v69, v16, v69                                // 000000005C24: 0A8A8B10
	ds_read_b64_tr_b16 a[176:177], v12 offset:4096             // 000000005C28: DBC61000 B000000C
	ds_read_b64_tr_b16 a[178:179], v12 offset:4352             // 000000005C30: DBC61100 B200000C
	v_mfma_f32_16x16x32_bf16 v[46:49], a[116:119], a[44:47], v[46:49]// 000000005C38: D3B5002E 1CBA5974
	buffer_load_dwordx4 v32, s[20:23], 0 offen offset:448 lds  // 000000005C40: E05D11C0 80050020
	s_add_i32 m0, m0, 0x3c0                                    // 000000005C48: 817CFF7C 000003C0
	v_mul_f32_e32 v70, v16, v70                                // 000000005C50: 0A8C8D10
	v_mul_f32_e32 v71, v16, v71                                // 000000005C54: 0A8E8F10
	v_mfma_f32_16x16x32_bf16 v[46:49], a[120:123], a[48:51], v[46:49]// 000000005C58: D3B5002E 1CBA6178
	v_mul_f32_e32 v72, v16, v72                                // 000000005C60: 0A909110
	v_mul_f32_e32 v73, v16, v73                                // 000000005C64: 0A929310
	ds_read_b64_tr_b16 a[180:181], v13 offset:4096             // 000000005C68: DBC61000 B400000D
	ds_read_b64_tr_b16 a[182:183], v13 offset:4352             // 000000005C70: DBC61100 B600000D
	v_mfma_f32_16x16x32_bf16 v[46:49], a[124:127], a[52:55], v[46:49]// 000000005C78: D3B5002E 1CBA697C
	v_mul_f32_e32 v74, v16, v74                                // 000000005C80: 0A949510
	v_mul_f32_e32 v75, v16, v75                                // 000000005C84: 0A969710
	ds_read_b64_tr_b16 a[184:185], v12 offset:5120             // 000000005C88: DBC61400 B800000C
	ds_read_b64_tr_b16 a[186:187], v12 offset:5376             // 000000005C90: DBC61500 BA00000C
	v_mfma_f32_16x16x32_bf16 v[46:49], a[128:131], a[56:59], v[46:49]// 000000005C98: D3B5002E 1CBA7180
	v_mul_f32_e32 v76, v16, v76                                // 000000005CA0: 0A989910
	v_mul_f32_e32 v77, v16, v77                                // 000000005CA4: 0A9A9B10
	ds_read_b64_tr_b16 a[188:189], v13 offset:5120             // 000000005CA8: DBC61400 BC00000D
	ds_read_b64_tr_b16 a[190:191], v13 offset:5376             // 000000005CB0: DBC61500 BE00000D
	v_mfma_f32_16x16x32_bf16 v[46:49], a[132:135], a[60:63], v[46:49]// 000000005CB8: D3B5002E 1CBA7984
	buffer_load_dwordx4 v32, s[20:23], 0 offen offset:512 lds  // 000000005CC0: E05D1200 80050020
	s_add_i32 m0, m0, 0x3c0                                    // 000000005CC8: 817CFF7C 000003C0
	v_mfma_f32_16x16x32_bf16 v[46:49], a[136:139], a[64:67], v[46:49]// 000000005CD0: D3B5002E 1CBA8188
	v_mul_f32_e32 v78, v16, v78                                // 000000005CD8: 0A9C9D10
	v_mul_f32_e32 v79, v16, v79                                // 000000005CDC: 0A9E9F10
	ds_read_b64_tr_b16 a[192:193], v12 offset:6144             // 000000005CE0: DBC61800 C000000C
	ds_read_b64_tr_b16 a[194:195], v12 offset:6400             // 000000005CE8: DBC61900 C200000C
	ds_read_b64_tr_b16 a[196:197], v13 offset:6144             // 000000005CF0: DBC61800 C400000D
	ds_read_b64_tr_b16 a[198:199], v13 offset:6400             // 000000005CF8: DBC61900 C600000D
	ds_read_b64_tr_b16 a[200:201], v12 offset:7168             // 000000005D00: DBC61C00 C800000C
	ds_read_b64_tr_b16 a[202:203], v12 offset:7424             // 000000005D08: DBC61D00 CA00000C
	ds_read_b64_tr_b16 a[204:205], v13 offset:7168             // 000000005D10: DBC61C00 CC00000D
	ds_read_b64_tr_b16 a[206:207], v13 offset:7424             // 000000005D18: DBC61D00 CE00000D
	v_mov_b32_e32 v30, v16                                     // 000000005D20: 7E3C0310
	v_mov_b32_e32 v31, v16                                     // 000000005D24: 7E3E0310
	v_pk_mul_f32 v[80:81], v[30:31], v[80:81]                  // 000000005D28: D3B14050 1802A11E
	v_pk_mul_f32 v[82:83], v[30:31], v[82:83]                  // 000000005D30: D3B14052 1802A51E
	v_pk_mul_f32 v[84:85], v[30:31], v[84:85]                  // 000000005D38: D3B14054 1802A91E
	v_pk_mul_f32 v[86:87], v[30:31], v[86:87]                  // 000000005D40: D3B14056 1802AD1E
	v_pk_mul_f32 v[88:89], v[30:31], v[88:89]                  // 000000005D48: D3B14058 1802B11E
	v_pk_mul_f32 v[90:91], v[30:31], v[90:91]                  // 000000005D50: D3B1405A 1802B51E
	v_pk_mul_f32 v[92:93], v[30:31], v[92:93]                  // 000000005D58: D3B1405C 1802B91E
	v_pk_mul_f32 v[94:95], v[30:31], v[94:95]                  // 000000005D60: D3B1405E 1802BD1E
	v_pk_mul_f32 v[96:97], v[30:31], v[96:97]                  // 000000005D68: D3B14060 1802C11E
	v_pk_mul_f32 v[98:99], v[30:31], v[98:99]                  // 000000005D70: D3B14062 1802C51E
	v_pk_mul_f32 v[100:101], v[30:31], v[100:101]              // 000000005D78: D3B14064 1802C91E
	v_pk_mul_f32 v[102:103], v[30:31], v[102:103]              // 000000005D80: D3B14066 1802CD1E
	v_pk_mul_f32 v[104:105], v[30:31], v[104:105]              // 000000005D88: D3B14068 1802D11E
	v_pk_mul_f32 v[106:107], v[30:31], v[106:107]              // 000000005D90: D3B1406A 1802D51E
	v_pk_mul_f32 v[108:109], v[30:31], v[108:109]              // 000000005D98: D3B1406C 1802D91E
	v_pk_mul_f32 v[110:111], v[30:31], v[110:111]              // 000000005DA0: D3B1406E 1802DD1E
	v_pk_mul_f32 v[112:113], v[30:31], v[112:113]              // 000000005DA8: D3B14070 1802E11E
	v_pk_mul_f32 v[114:115], v[30:31], v[114:115]              // 000000005DB0: D3B14072 1802E51E
	v_pk_mul_f32 v[116:117], v[30:31], v[116:117]              // 000000005DB8: D3B14074 1802E91E
	v_pk_mul_f32 v[118:119], v[30:31], v[118:119]              // 000000005DC0: D3B14076 1802ED1E
	v_pk_mul_f32 v[120:121], v[30:31], v[120:121]              // 000000005DC8: D3B14078 1802F11E
	v_pk_mul_f32 v[122:123], v[30:31], v[122:123]              // 000000005DD0: D3B1407A 1802F51E
	v_pk_mul_f32 v[124:125], v[30:31], v[124:125]              // 000000005DD8: D3B1407C 1802F91E
	v_pk_mul_f32 v[126:127], v[30:31], v[126:127]              // 000000005DE0: D3B1407E 1802FD1E
	v_pk_mul_f32 v[128:129], v[30:31], v[128:129]              // 000000005DE8: D3B14080 1803011E
	v_pk_mul_f32 v[130:131], v[30:31], v[130:131]              // 000000005DF0: D3B14082 1803051E
	v_pk_mul_f32 v[132:133], v[30:31], v[132:133]              // 000000005DF8: D3B14084 1803091E
	v_pk_mul_f32 v[134:135], v[30:31], v[134:135]              // 000000005E00: D3B14086 18030D1E
	v_pk_mul_f32 v[136:137], v[30:31], v[136:137]              // 000000005E08: D3B14088 1803111E
	v_pk_mul_f32 v[138:139], v[30:31], v[138:139]              // 000000005E10: D3B1408A 1803151E
	v_pk_mul_f32 v[140:141], v[30:31], v[140:141]              // 000000005E18: D3B1408C 1803191E
	v_pk_mul_f32 v[142:143], v[30:31], v[142:143]              // 000000005E20: D3B1408E 18031D1E
	v_pk_mul_f32 v[144:145], v[30:31], v[144:145]              // 000000005E28: D3B14090 1803211E
	v_pk_mul_f32 v[146:147], v[30:31], v[146:147]              // 000000005E30: D3B14092 1803251E
	v_pk_mul_f32 v[148:149], v[30:31], v[148:149]              // 000000005E38: D3B14094 1803291E
	v_pk_mul_f32 v[150:151], v[30:31], v[150:151]              // 000000005E40: D3B14096 18032D1E
	v_pk_mul_f32 v[152:153], v[30:31], v[152:153]              // 000000005E48: D3B14098 1803311E
	v_pk_mul_f32 v[154:155], v[30:31], v[154:155]              // 000000005E50: D3B1409A 1803351E
	v_pk_mul_f32 v[156:157], v[30:31], v[156:157]              // 000000005E58: D3B1409C 1803391E
	v_pk_mul_f32 v[158:159], v[30:31], v[158:159]              // 000000005E60: D3B1409E 18033D1E
	v_pk_mul_f32 v[160:161], v[30:31], v[160:161]              // 000000005E68: D3B140A0 1803411E
	v_pk_mul_f32 v[162:163], v[30:31], v[162:163]              // 000000005E70: D3B140A2 1803451E
	v_pk_mul_f32 v[164:165], v[30:31], v[164:165]              // 000000005E78: D3B140A4 1803491E
	v_pk_mul_f32 v[166:167], v[30:31], v[166:167]              // 000000005E80: D3B140A6 18034D1E
	v_pk_mul_f32 v[168:169], v[30:31], v[168:169]              // 000000005E88: D3B140A8 1803511E
	v_pk_mul_f32 v[170:171], v[30:31], v[170:171]              // 000000005E90: D3B140AA 1803551E
	v_pk_mul_f32 v[172:173], v[30:31], v[172:173]              // 000000005E98: D3B140AC 1803591E
	v_pk_mul_f32 v[174:175], v[30:31], v[174:175]              // 000000005EA0: D3B140AE 18035D1E
	v_pk_mul_f32 v[176:177], v[30:31], v[176:177]              // 000000005EA8: D3B140B0 1803611E
	v_mfma_f32_16x16x32_bf16 v[46:49], a[140:143], a[68:71], v[46:49]// 000000005EB0: D3B5002E 1CBA898C
	s_addk_i32 s70, 0x1                                        // 000000005EB8: B7460001
	s_cmp_lt_i32 s70, s71                                      // 000000005EBC: BF044746
	s_cbranch_scc0 label_39C8                                  // 000000005EC0: BF840001
	s_branch label_1404                                        // 000000005EC4: BF82F68F

0000000000005ec8 <label_39C8>:
	s_nop 0                                                    // 000000005EC8: BF800000
	s_nop 0                                                    // 000000005ECC: BF800000
	s_branch label_62A0                                        // 000000005ED0: BF820A33

0000000000005ed4 <label_39D4>:
	s_waitcnt lgkmcnt(0)                                       // 000000005ED4: BF8CC07F
	v_mul_u32_u24_e64 v32, v22, s68                            // 000000005ED8: D1080020 00008916
	v_add_u32_e32 v32, v32, v1                                 // 000000005EE0: 68400320
	v_mfma_f32_16x16x32_bf16 v[50:53], a[144:147], v[34:37], v[50:53]// 000000005EE4: D3B50032 0CCA4590
	v_mov_b32_e32 v29, v42                                     // 000000005EEC: 7E3A032A
	v_max3_f32 v29, v42, v43, v29                              // 000000005EF0: D1D3001D 0476572A
	v_mfma_f32_16x16x32_bf16 v[54:57], a[148:151], v[34:37], v[54:57]// 000000005EF8: D3B50036 0CDA4594
	ds_read_b64_tr_b16 a[144:145], v12 offset:8192             // 000000005F00: DBC62000 9000000C
	ds_read_b64_tr_b16 a[146:147], v12 offset:8448             // 000000005F08: DBC62100 9200000C
	v_mfma_f32_16x16x32_bf16 v[58:61], a[152:155], v[34:37], v[58:61]// 000000005F10: D3B5003A 0CEA4598
	v_max3_f32 v29, v44, v45, v29                              // 000000005F18: D1D3001D 04765B2C
	v_max3_f32 v29, v46, v47, v29                              // 000000005F20: D1D3001D 04765F2E
	v_mfma_f32_16x16x32_bf16 v[62:65], a[156:159], v[34:37], v[62:65]// 000000005F28: D3B5003E 0CFA459C
	ds_read_b64_tr_b16 a[148:149], v13 offset:8192             // 000000005F30: DBC62000 9400000D
	ds_read_b64_tr_b16 a[150:151], v13 offset:8448             // 000000005F38: DBC62100 9600000D
	v_mfma_f32_16x16x32_bf16 v[66:69], a[160:163], v[34:37], v[66:69]// 000000005F40: D3B50042 0D0A45A0
	v_max3_f32 v29, v48, v49, v29                              // 000000005F48: D1D3001D 04766330
	v_mov_b32_e32 v28, v29                                     // 000000005F50: 7E38031D
	v_mfma_f32_16x16x32_bf16 v[70:73], a[164:167], v[34:37], v[70:73]// 000000005F54: D3B50046 0D1A45A4
	ds_read_b64_tr_b16 a[152:153], v12 offset:9216             // 000000005F5C: DBC62400 9800000C
	ds_read_b64_tr_b16 a[154:155], v12 offset:9472             // 000000005F64: DBC62500 9A00000C
	v_mfma_f32_16x16x32_bf16 v[74:77], a[168:171], v[34:37], v[74:77]// 000000005F6C: D3B5004A 0D2A45A8
	v_mov_b32_e32 v29, v29                                     // 000000005F74: 7E3A031D
	s_nop 1                                                    // 000000005F78: BF800001
	v_mfma_f32_16x16x32_bf16 v[78:81], a[172:175], v[34:37], v[78:81]// 000000005F7C: D3B5004E 0D3A45AC
	ds_read_b64_tr_b16 a[156:157], v13 offset:9216             // 000000005F84: DBC62400 9C00000D
	ds_read_b64_tr_b16 a[158:159], v13 offset:9472             // 000000005F8C: DBC62500 9E00000D
	v_mfma_f32_16x16x32_bf16 v[82:85], a[176:179], v[34:37], v[82:85]// 000000005F94: D3B50052 0D4A45B0
	v_permlane16_swap_b32_e32 v28, v29                         // 000000005F9C: 7E38B31D
	v_mfma_f32_16x16x32_bf16 v[86:89], a[180:183], v[34:37], v[86:89]// 000000005FA0: D3B50056 0D5A45B4
	ds_read_b64_tr_b16 a[160:161], v12 offset:10240            // 000000005FA8: DBC62800 A000000C
	ds_read_b64_tr_b16 a[162:163], v12 offset:10496            // 000000005FB0: DBC62900 A200000C
	v_mfma_f32_16x16x32_bf16 v[90:93], a[184:187], v[34:37], v[90:93]// 000000005FB8: D3B5005A 0D6A45B8
	v_mov_b32_e32 v31, v28                                     // 000000005FC0: 7E3E031C
	v_mov_b32_e32 v30, v29                                     // 000000005FC4: 7E3C031D
	v_mfma_f32_16x16x32_bf16 v[94:97], a[188:191], v[34:37], v[94:97]// 000000005FC8: D3B5005E 0D7A45BC
	ds_read_b64_tr_b16 a[164:165], v13 offset:10240            // 000000005FD0: DBC62800 A400000D
	ds_read_b64_tr_b16 a[166:167], v13 offset:10496            // 000000005FD8: DBC62900 A600000D
	v_mfma_f32_16x16x32_bf16 v[98:101], a[192:195], v[34:37], v[98:101]// 000000005FE0: D3B50062 0D8A45C0
	s_nop 1                                                    // 000000005FE8: BF800001
	v_permlane32_swap_b32_e32 v28, v29                         // 000000005FEC: 7E38B51D
	v_mfma_f32_16x16x32_bf16 v[102:105], a[196:199], v[34:37], v[102:105]// 000000005FF0: D3B50066 0D9A45C4
	ds_read_b64_tr_b16 a[168:169], v12 offset:11264            // 000000005FF8: DBC62C00 A800000C
	ds_read_b64_tr_b16 a[170:171], v12 offset:11520            // 000000006000: DBC62D00 AA00000C
	v_mfma_f32_16x16x32_bf16 v[106:109], a[200:203], v[34:37], v[106:109]// 000000006008: D3B5006A 0DAA45C8
	v_permlane32_swap_b32_e32 v30, v31                         // 000000006010: 7E3CB51F
	v_mfma_f32_16x16x32_bf16 v[110:113], a[204:207], v[34:37], v[110:113]// 000000006014: D3B5006E 0DBA45CC
	ds_read_b64_tr_b16 a[172:173], v13 offset:11264            // 00000000601C: DBC62C00 AC00000D
	ds_read_b64_tr_b16 a[174:175], v13 offset:11520            // 000000006024: DBC62D00 AE00000D
	ds_read_b64_tr_b16 a[176:177], v12 offset:12288            // 00000000602C: DBC63000 B000000C
	ds_read_b64_tr_b16 a[178:179], v12 offset:12544            // 000000006034: DBC63100 B200000C
	ds_read_b64_tr_b16 a[180:181], v13 offset:12288            // 00000000603C: DBC63000 B400000D
	ds_read_b64_tr_b16 a[182:183], v13 offset:12544            // 000000006044: DBC63100 B600000D
	ds_read_b64_tr_b16 a[184:185], v12 offset:13312            // 00000000604C: DBC63400 B800000C
	ds_read_b64_tr_b16 a[186:187], v12 offset:13568            // 000000006054: DBC63500 BA00000C
	ds_read_b64_tr_b16 a[188:189], v13 offset:13312            // 00000000605C: DBC63400 BC00000D
	ds_read_b64_tr_b16 a[190:191], v13 offset:13568            // 000000006064: DBC63500 BE00000D
	s_waitcnt lgkmcnt(0)                                       // 00000000606C: BF8CC07F
	v_mfma_f32_16x16x32_bf16 v[114:117], a[144:147], v[34:37], v[114:117]// 000000006070: D3B50072 0DCA4590
	ds_read_b64_tr_b16 a[192:193], v12 offset:14336            // 000000006078: DBC63800 C000000C
	ds_read_b64_tr_b16 a[194:195], v12 offset:14592            // 000000006080: DBC63900 C200000C
	v_mfma_f32_16x16x32_bf16 v[118:121], a[148:151], v[34:37], v[118:121]// 000000006088: D3B50076 0DDA4594
	s_waitcnt vmcnt(10)                                        // 000000006090: BF8C0F7A
	s_barrier                                                  // 000000006094: BF8A0000
	ds_read_b128 a[72:75], v18                                 // 000000006098: DBFE0000 48000012
	ds_read_b128 a[76:79], v18 offset:1024                     // 0000000060A0: DBFE0400 4C000012
	v_mfma_f32_16x16x32_bf16 v[122:125], a[152:155], v[34:37], v[122:125]// 0000000060A8: D3B5007A 0DEA4598
	ds_read_b64_tr_b16 a[196:197], v13 offset:14336            // 0000000060B0: DBC63800 C400000D
	ds_read_b64_tr_b16 a[198:199], v13 offset:14592            // 0000000060B8: DBC63900 C600000D
	v_mfma_f32_16x16x32_bf16 v[126:129], a[156:159], v[34:37], v[126:129]// 0000000060C0: D3B5007E 0DFA459C
	ds_read_b128 a[80:83], v18 offset:2048                     // 0000000060C8: DBFE0800 50000012
	ds_read_b128 a[84:87], v18 offset:3072                     // 0000000060D0: DBFE0C00 54000012
	v_mfma_f32_16x16x32_bf16 v[130:133], a[160:163], v[34:37], v[130:133]// 0000000060D8: D3B50082 0E0A45A0
	ds_read_b64_tr_b16 a[200:201], v12 offset:15360            // 0000000060E0: DBC63C00 C800000C
	ds_read_b64_tr_b16 a[202:203], v12 offset:15616            // 0000000060E8: DBC63D00 CA00000C
	v_mfma_f32_16x16x32_bf16 v[134:137], a[164:167], v[34:37], v[134:137]// 0000000060F0: D3B50086 0E1A45A4
	ds_read_b128 a[88:91], v18 offset:4096                     // 0000000060F8: DBFE1000 58000012
	ds_read_b128 a[92:95], v18 offset:5120                     // 000000006100: DBFE1400 5C000012
	v_mfma_f32_16x16x32_bf16 v[138:141], a[168:171], v[34:37], v[138:141]// 000000006108: D3B5008A 0E2A45A8
	ds_read_b64_tr_b16 a[204:205], v13 offset:15360            // 000000006110: DBC63C00 CC00000D
	ds_read_b64_tr_b16 a[206:207], v13 offset:15616            // 000000006118: DBC63D00 CE00000D
	v_mfma_f32_16x16x32_bf16 v[142:145], a[172:175], v[34:37], v[142:145]// 000000006120: D3B5008E 0E3A45AC
	ds_read_b128 a[96:99], v18 offset:6144                     // 000000006128: DBFE1800 60000012
	ds_read_b128 a[100:103], v18 offset:7168                   // 000000006130: DBFE1C00 64000012
	v_mfma_f32_16x16x32_bf16 v[146:149], a[176:179], v[34:37], v[146:149]// 000000006138: D3B50092 0E4A45B0
	v_max3_f32 v29, v28, v29, v29                              // 000000006140: D1D3001D 04763B1C
	v_max3_f32 v29, v30, v31, v29                              // 000000006148: D1D3001D 04763F1E
	v_mfma_f32_16x16x32_bf16 v[150:153], a[180:183], v[34:37], v[150:153]// 000000006150: D3B50096 0E5A45B4
	ds_read_b128 a[104:107], v18 offset:8192                   // 000000006158: DBFE2000 68000012
	ds_read_b128 a[108:111], v18 offset:9216                   // 000000006160: DBFE2400 6C000012
	v_mfma_f32_16x16x32_bf16 v[154:157], a[184:187], v[34:37], v[154:157]// 000000006168: D3B5009A 0E6A45B8
	v_mov_b32_e32 v28, 0xff800000                              // 000000006170: 7E3802FF FF800000
	v_cmp_eq_u32_e64 s[36:37], v28, v2                         // 000000006178: D0CA0024 0002051C
	v_mfma_f32_16x16x32_bf16 v[158:161], a[188:191], v[34:37], v[158:161]// 000000006180: D3B5009E 0E7A45BC
	ds_read_b128 a[112:115], v18 offset:10240                  // 000000006188: DBFE2800 70000012
	ds_read_b128 a[116:119], v18 offset:11264                  // 000000006190: DBFE2C00 74000012
	v_mfma_f32_16x16x32_bf16 v[162:165], a[192:195], v[34:37], v[162:165]// 000000006198: D3B500A2 0E8A45C0
	v_max_f32_e32 v29, v29, v2                                 // 0000000061A0: 163A051D
	v_sub_f32_e32 v16, v2, v29                                 // 0000000061A4: 04203B02
	v_mfma_f32_16x16x32_bf16 v[166:169], a[196:199], v[34:37], v[166:169]// 0000000061A8: D3B500A6 0E9A45C4
	ds_read_b128 a[120:123], v18 offset:12288                  // 0000000061B0: DBFE3000 78000012
	ds_read_b128 a[124:127], v18 offset:13312                  // 0000000061B8: DBFE3400 7C000012
	v_mfma_f32_16x16x32_bf16 v[170:173], a[200:203], v[34:37], v[170:173]// 0000000061C0: D3B500AA 0EAA45C8
	v_cndmask_b32_e64 v16, v16, 0, s[36:37]                    // 0000000061C8: D1000010 00910110
	v_mov_b32_e32 v2, v29                                      // 0000000061D0: 7E04031D
	v_mfma_f32_16x16x32_bf16 v[174:177], a[204:207], v[34:37], v[174:177]// 0000000061D4: D3B500AE 0EBA45CC
	ds_read_b128 a[128:131], v18 offset:14336                  // 0000000061DC: DBFE3800 80000012
	ds_read_b128 a[132:135], v18 offset:15360                  // 0000000061E4: DBFE3C00 84000012
	ds_read_b128 a[136:139], v18 offset:16384                  // 0000000061EC: DBFE4000 88000012
	ds_read_b128 a[140:143], v18 offset:17408                  // 0000000061F4: DBFE4400 8C000012
	s_waitcnt lgkmcnt(0)                                       // 0000000061FC: BF8CC07F
	v_mfma_f32_16x16x32_bf16 v[34:37], a[72:75], a[0:3], 0     // 000000006200: D3B50022 1A020148
	buffer_load_dword v24, v26, s[24:27], 0 offen              // 000000006208: E0501000 8006181A
	v_mul_f32_e32 v29, s5, v29                                 // 000000006210: 0A3A3A05
	s_mov_b32 s56, 0x14000                                     // 000000006214: BEB800FF 00014000
	s_mul_i32 s57, s7, 0x2400                                  // 00000000621C: 9239FF07 00002400
	s_add_u32 m0, s56, s57                                     // 000000006224: 807C3938
	buffer_load_dwordx4 v32, s[20:23], 0 offen lds             // 000000006228: E05D1000 80050020
	s_add_i32 m0, m0, 0x3c0                                    // 000000006230: 817CFF7C 000003C0
	v_mfma_f32_16x16x32_bf16 v[34:37], a[76:79], a[4:7], v[34:37]// 000000006238: D3B50022 1C8A094C
	buffer_load_dwordx4 v32, s[20:23], 0 offen offset:64 lds   // 000000006240: E05D1040 80050020
	s_add_i32 m0, m0, 0x3c0                                    // 000000006248: 817CFF7C 000003C0
	v_mfma_f32_16x16x32_bf16 v[34:37], a[80:83], a[8:11], v[34:37]// 000000006250: D3B50022 1C8A1150
	v_mul_f32_e32 v16, s5, v16                                 // 000000006258: 0A202005
	v_exp_f32_e32 v16, v16                                     // 00000000625C: 7E204110
	v_mfma_f32_16x16x32_bf16 v[34:37], a[84:87], a[12:15], v[34:37]// 000000006260: D3B50022 1C8A1954
	v_add_u32_e32 v26, s73, v26                                // 000000006268: 68343449
	ds_read_b128 a[72:75], v18 offset:18432                    // 00000000626C: DBFE4800 48000012
	ds_read_b128 a[76:79], v18 offset:19456                    // 000000006274: DBFE4C00 4C000012
	v_fma_f32 v42, v42, s5, -v29                               // 00000000627C: D1CB002A 84740B2A
	v_mfma_f32_16x16x32_bf16 v[34:37], a[88:91], a[16:19], v[34:37]// 000000006284: D3B50022 1C8A2158
	ds_read_b128 a[80:83], v18 offset:20480                    // 00000000628C: DBFE5000 50000012
	ds_read_b128 a[84:87], v18 offset:21504                    // 000000006294: DBFE5400 54000012
	v_fma_f32 v43, v43, s5, -v29                               // 00000000629C: D1CB002B 84740B2B
	v_mfma_f32_16x16x32_bf16 v[34:37], a[92:95], a[20:23], v[34:37]// 0000000062A4: D3B50022 1C8A295C
	buffer_load_dwordx4 v32, s[20:23], 0 offen offset:128 lds  // 0000000062AC: E05D1080 80050020
	s_add_i32 m0, m0, 0x3c0                                    // 0000000062B4: 817CFF7C 000003C0
	v_mfma_f32_16x16x32_bf16 v[34:37], a[96:99], a[24:27], v[34:37]// 0000000062BC: D3B50022 1C8A3160
	v_fma_f32 v44, v44, s5, -v29                               // 0000000062C4: D1CB002C 84740B2C
	v_fma_f32 v45, v45, s5, -v29                               // 0000000062CC: D1CB002D 84740B2D
	v_mfma_f32_16x16x32_bf16 v[34:37], a[100:103], a[28:31], v[34:37]// 0000000062D4: D3B50022 1C8A3964
	ds_read_b128 a[88:91], v18 offset:22528                    // 0000000062DC: DBFE5800 58000012
	ds_read_b128 a[92:95], v18 offset:23552                    // 0000000062E4: DBFE5C00 5C000012
	v_fma_f32 v46, v46, s5, -v29                               // 0000000062EC: D1CB002E 84740B2E
	v_mfma_f32_16x16x32_bf16 v[34:37], a[104:107], a[32:35], v[34:37]// 0000000062F4: D3B50022 1C8A4168
	ds_read_b128 a[96:99], v18 offset:24576                    // 0000000062FC: DBFE6000 60000012
	ds_read_b128 a[100:103], v18 offset:25600                  // 000000006304: DBFE6400 64000012
	v_fma_f32 v47, v47, s5, -v29                               // 00000000630C: D1CB002F 84740B2F
	v_mfma_f32_16x16x32_bf16 v[34:37], a[108:111], a[36:39], v[34:37]// 000000006314: D3B50022 1C8A496C
	buffer_load_dwordx4 v32, s[20:23], 0 offen offset:192 lds  // 00000000631C: E05D10C0 80050020
	s_add_i32 m0, m0, 0x3c0                                    // 000000006324: 817CFF7C 000003C0
	v_mfma_f32_16x16x32_bf16 v[34:37], a[112:115], a[40:43], v[34:37]// 00000000632C: D3B50022 1C8A5170
	v_fma_f32 v48, v48, s5, -v29                               // 000000006334: D1CB0030 84740B30
	v_fma_f32 v49, v49, s5, -v29                               // 00000000633C: D1CB0031 84740B31
	v_mfma_f32_16x16x32_bf16 v[34:37], a[116:119], a[44:47], v[34:37]// 000000006344: D3B50022 1C8A5974
	v_exp_f32_e32 v42, v42                                     // 00000000634C: 7E54412A
	v_mfma_f32_16x16x32_bf16 v[34:37], a[120:123], a[48:51], v[34:37]// 000000006350: D3B50022 1C8A6178
	ds_read_b128 a[104:107], v18 offset:26624                  // 000000006358: DBFE6800 68000012
	ds_read_b128 a[108:111], v18 offset:27648                  // 000000006360: DBFE6C00 6C000012
	v_exp_f32_e32 v43, v43                                     // 000000006368: 7E56412B
	v_mfma_f32_16x16x32_bf16 v[34:37], a[124:127], a[52:55], v[34:37]// 00000000636C: D3B50022 1C8A697C
	buffer_load_dwordx4 v32, s[20:23], 0 offen offset:256 lds  // 000000006374: E05D1100 80050020
	s_add_i32 m0, m0, 0x3c0                                    // 00000000637C: 817CFF7C 000003C0
	v_mfma_f32_16x16x32_bf16 v[34:37], a[128:131], a[56:59], v[34:37]// 000000006384: D3B50022 1C8A7180
	v_exp_f32_e32 v44, v44                                     // 00000000638C: 7E58412C
	v_mfma_f32_16x16x32_bf16 v[34:37], a[132:135], a[60:63], v[34:37]// 000000006390: D3B50022 1C8A7984
	ds_read_b128 a[112:115], v18 offset:28672                  // 000000006398: DBFE7000 70000012
	ds_read_b128 a[116:119], v18 offset:29696                  // 0000000063A0: DBFE7400 74000012
	v_exp_f32_e32 v45, v45                                     // 0000000063A8: 7E5A412D
	v_mfma_f32_16x16x32_bf16 v[34:37], a[136:139], a[64:67], v[34:37]// 0000000063AC: D3B50022 1C8A8188
	ds_read_b128 a[120:123], v18 offset:30720                  // 0000000063B4: DBFE7800 78000012
	ds_read_b128 a[124:127], v18 offset:31744                  // 0000000063BC: DBFE7C00 7C000012
	v_exp_f32_e32 v46, v46                                     // 0000000063C4: 7E5C412E
	v_mfma_f32_16x16x32_bf16 v[34:37], a[140:143], a[68:71], v[34:37]// 0000000063C8: D3B50022 1C8A898C
	ds_read_b128 a[128:131], v18 offset:32768                  // 0000000063D0: DBFE8000 80000012
	ds_read_b128 a[132:135], v18 offset:33792                  // 0000000063D8: DBFE8400 84000012
	v_exp_f32_e32 v47, v47                                     // 0000000063E0: 7E5E412F
	ds_read_b128 a[136:139], v18 offset:34816                  // 0000000063E4: DBFE8800 88000012
	ds_read_b128 a[140:143], v18 offset:35840                  // 0000000063EC: DBFE8C00 8C000012
	v_exp_f32_e32 v48, v48                                     // 0000000063F4: 7E604130
	v_exp_f32_e32 v49, v49                                     // 0000000063F8: 7E624131
	v_mul_f32_e32 v4, v16, v4                                  // 0000000063FC: 0A080910
	v_mov_b32_e32 v28, v42                                     // 000000006400: 7E38032A
	v_add_f32_e32 v28, v43, v28                                // 000000006404: 0238392B
	v_add_f32_e32 v28, v44, v28                                // 000000006408: 0238392C
	v_add_f32_e32 v28, v45, v28                                // 00000000640C: 0238392D
	v_add_f32_e32 v28, v46, v28                                // 000000006410: 0238392E
	v_add_f32_e32 v28, v47, v28                                // 000000006414: 0238392F
	v_add_f32_e32 v28, v48, v28                                // 000000006418: 02383930
	v_add_f32_e32 v28, v49, v28                                // 00000000641C: 02383931
	v_add_f32_e32 v4, v28, v4                                  // 000000006420: 0208091C
	v_cvt_pk_bf16_f32 v42, v42, v43                            // 000000006424: D268002A 0002572A
	v_cvt_pk_bf16_f32 v43, v44, v45                            // 00000000642C: D268002B 00025B2C
	v_cvt_pk_bf16_f32 v44, v46, v47                            // 000000006434: D268002C 00025F2E
	v_cvt_pk_bf16_f32 v45, v48, v49                            // 00000000643C: D268002D 00026330
	s_nop 0                                                    // 000000006444: BF800000
	v_permlane32_swap_b32_e32 v42, v44                         // 000000006448: 7E54B52C
	v_permlane32_swap_b32_e32 v43, v45                         // 00000000644C: 7E56B52D
	s_nop 0                                                    // 000000006450: BF800000
	v_permlane16_swap_b32_e32 v42, v44                         // 000000006454: 7E54B32C
	v_permlane16_swap_b32_e32 v43, v45                         // 000000006458: 7E56B32D
	s_waitcnt lgkmcnt(0)                                       // 00000000645C: BF8CC07F
	v_mfma_f32_16x16x32_bf16 v[38:41], a[72:75], a[0:3], 0     // 000000006460: D3B50026 1A020148
	v_mul_f32_e32 v50, v16, v50                                // 000000006468: 0A646510
	v_mul_f32_e32 v51, v16, v51                                // 00000000646C: 0A666710
	ds_read_b64_tr_b16 a[144:145], v14                         // 000000006470: DBC60000 9000000E
	ds_read_b64_tr_b16 a[146:147], v14 offset:256              // 000000006478: DBC60100 9200000E
	v_mfma_f32_16x16x32_bf16 v[38:41], a[76:79], a[4:7], v[38:41]// 000000006480: D3B50026 1C9A094C
	buffer_load_dwordx4 v32, s[20:23], 0 offen offset:320 lds  // 000000006488: E05D1140 80050020
	s_add_i32 m0, m0, 0x3c0                                    // 000000006490: 817CFF7C 000003C0
	v_mul_f32_e32 v52, v16, v52                                // 000000006498: 0A686910
	v_mul_f32_e32 v53, v16, v53                                // 00000000649C: 0A6A6B10
	v_mfma_f32_16x16x32_bf16 v[38:41], a[80:83], a[8:11], v[38:41]// 0000000064A0: D3B50026 1C9A1150
	v_mul_f32_e32 v54, v16, v54                                // 0000000064A8: 0A6C6D10
	v_mul_f32_e32 v55, v16, v55                                // 0000000064AC: 0A6E6F10
	ds_read_b64_tr_b16 a[148:149], v15                         // 0000000064B0: DBC60000 9400000F
	ds_read_b64_tr_b16 a[150:151], v15 offset:256              // 0000000064B8: DBC60100 9600000F
	v_mfma_f32_16x16x32_bf16 v[38:41], a[84:87], a[12:15], v[38:41]// 0000000064C0: D3B50026 1C9A1954
	v_mul_f32_e32 v56, v16, v56                                // 0000000064C8: 0A707110
	v_mul_f32_e32 v57, v16, v57                                // 0000000064CC: 0A727310
	ds_read_b64_tr_b16 a[152:153], v14 offset:1024             // 0000000064D0: DBC60400 9800000E
	ds_read_b64_tr_b16 a[154:155], v14 offset:1280             // 0000000064D8: DBC60500 9A00000E
	v_mfma_f32_16x16x32_bf16 v[38:41], a[88:91], a[16:19], v[38:41]// 0000000064E0: D3B50026 1C9A2158
	v_mul_f32_e32 v58, v16, v58                                // 0000000064E8: 0A747510
	v_mul_f32_e32 v59, v16, v59                                // 0000000064EC: 0A767710
	ds_read_b64_tr_b16 a[156:157], v15 offset:1024             // 0000000064F0: DBC60400 9C00000F
	ds_read_b64_tr_b16 a[158:159], v15 offset:1280             // 0000000064F8: DBC60500 9E00000F
	v_mfma_f32_16x16x32_bf16 v[38:41], a[92:95], a[20:23], v[38:41]// 000000006500: D3B50026 1C9A295C
	v_mul_f32_e32 v60, v16, v60                                // 000000006508: 0A787910
	v_mul_f32_e32 v61, v16, v61                                // 00000000650C: 0A7A7B10
	ds_read_b64_tr_b16 a[160:161], v14 offset:2048             // 000000006510: DBC60800 A000000E
	ds_read_b64_tr_b16 a[162:163], v14 offset:2304             // 000000006518: DBC60900 A200000E
	v_mfma_f32_16x16x32_bf16 v[38:41], a[96:99], a[24:27], v[38:41]// 000000006520: D3B50026 1C9A3160
	v_mul_f32_e32 v62, v16, v62                                // 000000006528: 0A7C7D10
	v_mul_f32_e32 v63, v16, v63                                // 00000000652C: 0A7E7F10
	ds_read_b64_tr_b16 a[164:165], v15 offset:2048             // 000000006530: DBC60800 A400000F
	ds_read_b64_tr_b16 a[166:167], v15 offset:2304             // 000000006538: DBC60900 A600000F
	v_mfma_f32_16x16x32_bf16 v[38:41], a[100:103], a[28:31], v[38:41]// 000000006540: D3B50026 1C9A3964
	buffer_load_dwordx4 v32, s[20:23], 0 offen offset:384 lds  // 000000006548: E05D1180 80050020
	s_add_i32 m0, m0, 0x3c0                                    // 000000006550: 817CFF7C 000003C0
	v_mfma_f32_16x16x32_bf16 v[38:41], a[104:107], a[32:35], v[38:41]// 000000006558: D3B50026 1C9A4168
	v_mul_f32_e32 v64, v16, v64                                // 000000006560: 0A808110
	v_mul_f32_e32 v65, v16, v65                                // 000000006564: 0A828310
	ds_read_b64_tr_b16 a[168:169], v14 offset:3072             // 000000006568: DBC60C00 A800000E
	ds_read_b64_tr_b16 a[170:171], v14 offset:3328             // 000000006570: DBC60D00 AA00000E
	v_mfma_f32_16x16x32_bf16 v[38:41], a[108:111], a[36:39], v[38:41]// 000000006578: D3B50026 1C9A496C
	v_mul_f32_e32 v66, v16, v66                                // 000000006580: 0A848510
	v_mul_f32_e32 v67, v16, v67                                // 000000006584: 0A868710
	ds_read_b64_tr_b16 a[172:173], v15 offset:3072             // 000000006588: DBC60C00 AC00000F
	ds_read_b64_tr_b16 a[174:175], v15 offset:3328             // 000000006590: DBC60D00 AE00000F
	v_mfma_f32_16x16x32_bf16 v[38:41], a[112:115], a[40:43], v[38:41]// 000000006598: D3B50026 1C9A5170
	v_mul_f32_e32 v68, v16, v68                                // 0000000065A0: 0A888910
	v_mul_f32_e32 v69, v16, v69                                // 0000000065A4: 0A8A8B10
	ds_read_b64_tr_b16 a[176:177], v14 offset:4096             // 0000000065A8: DBC61000 B000000E
	ds_read_b64_tr_b16 a[178:179], v14 offset:4352             // 0000000065B0: DBC61100 B200000E
	v_mfma_f32_16x16x32_bf16 v[38:41], a[116:119], a[44:47], v[38:41]// 0000000065B8: D3B50026 1C9A5974
	buffer_load_dwordx4 v32, s[20:23], 0 offen offset:448 lds  // 0000000065C0: E05D11C0 80050020
	s_add_i32 m0, m0, 0x3c0                                    // 0000000065C8: 817CFF7C 000003C0
	v_mul_f32_e32 v70, v16, v70                                // 0000000065D0: 0A8C8D10
	v_mul_f32_e32 v71, v16, v71                                // 0000000065D4: 0A8E8F10
	v_mfma_f32_16x16x32_bf16 v[38:41], a[120:123], a[48:51], v[38:41]// 0000000065D8: D3B50026 1C9A6178
	v_mul_f32_e32 v72, v16, v72                                // 0000000065E0: 0A909110
	v_mul_f32_e32 v73, v16, v73                                // 0000000065E4: 0A929310
	ds_read_b64_tr_b16 a[180:181], v15 offset:4096             // 0000000065E8: DBC61000 B400000F
	ds_read_b64_tr_b16 a[182:183], v15 offset:4352             // 0000000065F0: DBC61100 B600000F
	v_mfma_f32_16x16x32_bf16 v[38:41], a[124:127], a[52:55], v[38:41]// 0000000065F8: D3B50026 1C9A697C
	v_mul_f32_e32 v74, v16, v74                                // 000000006600: 0A949510
	v_mul_f32_e32 v75, v16, v75                                // 000000006604: 0A969710
	ds_read_b64_tr_b16 a[184:185], v14 offset:5120             // 000000006608: DBC61400 B800000E
	ds_read_b64_tr_b16 a[186:187], v14 offset:5376             // 000000006610: DBC61500 BA00000E
	v_mfma_f32_16x16x32_bf16 v[38:41], a[128:131], a[56:59], v[38:41]// 000000006618: D3B50026 1C9A7180
	v_mul_f32_e32 v76, v16, v76                                // 000000006620: 0A989910
	v_mul_f32_e32 v77, v16, v77                                // 000000006624: 0A9A9B10
	ds_read_b64_tr_b16 a[188:189], v15 offset:5120             // 000000006628: DBC61400 BC00000F
	ds_read_b64_tr_b16 a[190:191], v15 offset:5376             // 000000006630: DBC61500 BE00000F
	v_mfma_f32_16x16x32_bf16 v[38:41], a[132:135], a[60:63], v[38:41]// 000000006638: D3B50026 1C9A7984
	buffer_load_dwordx4 v32, s[20:23], 0 offen offset:512 lds  // 000000006640: E05D1200 80050020
	s_add_i32 m0, m0, 0x3c0                                    // 000000006648: 817CFF7C 000003C0
	v_mfma_f32_16x16x32_bf16 v[38:41], a[136:139], a[64:67], v[38:41]// 000000006650: D3B50026 1C9A8188
	v_mul_f32_e32 v78, v16, v78                                // 000000006658: 0A9C9D10
	v_mul_f32_e32 v79, v16, v79                                // 00000000665C: 0A9E9F10
	ds_read_b64_tr_b16 a[192:193], v14 offset:6144             // 000000006660: DBC61800 C000000E
	ds_read_b64_tr_b16 a[194:195], v14 offset:6400             // 000000006668: DBC61900 C200000E
	ds_read_b64_tr_b16 a[196:197], v15 offset:6144             // 000000006670: DBC61800 C400000F
	ds_read_b64_tr_b16 a[198:199], v15 offset:6400             // 000000006678: DBC61900 C600000F
	ds_read_b64_tr_b16 a[200:201], v14 offset:7168             // 000000006680: DBC61C00 C800000E
	ds_read_b64_tr_b16 a[202:203], v14 offset:7424             // 000000006688: DBC61D00 CA00000E
	ds_read_b64_tr_b16 a[204:205], v15 offset:7168             // 000000006690: DBC61C00 CC00000F
	ds_read_b64_tr_b16 a[206:207], v15 offset:7424             // 000000006698: DBC61D00 CE00000F
	v_mov_b32_e32 v30, v16                                     // 0000000066A0: 7E3C0310
	v_mov_b32_e32 v31, v16                                     // 0000000066A4: 7E3E0310
	v_pk_mul_f32 v[80:81], v[30:31], v[80:81]                  // 0000000066A8: D3B14050 1802A11E
	v_pk_mul_f32 v[82:83], v[30:31], v[82:83]                  // 0000000066B0: D3B14052 1802A51E
	v_pk_mul_f32 v[84:85], v[30:31], v[84:85]                  // 0000000066B8: D3B14054 1802A91E
	v_pk_mul_f32 v[86:87], v[30:31], v[86:87]                  // 0000000066C0: D3B14056 1802AD1E
	v_pk_mul_f32 v[88:89], v[30:31], v[88:89]                  // 0000000066C8: D3B14058 1802B11E
	v_pk_mul_f32 v[90:91], v[30:31], v[90:91]                  // 0000000066D0: D3B1405A 1802B51E
	v_pk_mul_f32 v[92:93], v[30:31], v[92:93]                  // 0000000066D8: D3B1405C 1802B91E
	v_pk_mul_f32 v[94:95], v[30:31], v[94:95]                  // 0000000066E0: D3B1405E 1802BD1E
	v_pk_mul_f32 v[96:97], v[30:31], v[96:97]                  // 0000000066E8: D3B14060 1802C11E
	v_pk_mul_f32 v[98:99], v[30:31], v[98:99]                  // 0000000066F0: D3B14062 1802C51E
	v_pk_mul_f32 v[100:101], v[30:31], v[100:101]              // 0000000066F8: D3B14064 1802C91E
	v_pk_mul_f32 v[102:103], v[30:31], v[102:103]              // 000000006700: D3B14066 1802CD1E
	v_pk_mul_f32 v[104:105], v[30:31], v[104:105]              // 000000006708: D3B14068 1802D11E
	v_pk_mul_f32 v[106:107], v[30:31], v[106:107]              // 000000006710: D3B1406A 1802D51E
	v_pk_mul_f32 v[108:109], v[30:31], v[108:109]              // 000000006718: D3B1406C 1802D91E
	v_pk_mul_f32 v[110:111], v[30:31], v[110:111]              // 000000006720: D3B1406E 1802DD1E
	v_pk_mul_f32 v[112:113], v[30:31], v[112:113]              // 000000006728: D3B14070 1802E11E
	v_pk_mul_f32 v[114:115], v[30:31], v[114:115]              // 000000006730: D3B14072 1802E51E
	v_pk_mul_f32 v[116:117], v[30:31], v[116:117]              // 000000006738: D3B14074 1802E91E
	v_pk_mul_f32 v[118:119], v[30:31], v[118:119]              // 000000006740: D3B14076 1802ED1E
	v_pk_mul_f32 v[120:121], v[30:31], v[120:121]              // 000000006748: D3B14078 1802F11E
	v_pk_mul_f32 v[122:123], v[30:31], v[122:123]              // 000000006750: D3B1407A 1802F51E
	v_pk_mul_f32 v[124:125], v[30:31], v[124:125]              // 000000006758: D3B1407C 1802F91E
	v_pk_mul_f32 v[126:127], v[30:31], v[126:127]              // 000000006760: D3B1407E 1802FD1E
	v_pk_mul_f32 v[128:129], v[30:31], v[128:129]              // 000000006768: D3B14080 1803011E
	v_pk_mul_f32 v[130:131], v[30:31], v[130:131]              // 000000006770: D3B14082 1803051E
	v_pk_mul_f32 v[132:133], v[30:31], v[132:133]              // 000000006778: D3B14084 1803091E
	v_pk_mul_f32 v[134:135], v[30:31], v[134:135]              // 000000006780: D3B14086 18030D1E
	v_pk_mul_f32 v[136:137], v[30:31], v[136:137]              // 000000006788: D3B14088 1803111E
	v_pk_mul_f32 v[138:139], v[30:31], v[138:139]              // 000000006790: D3B1408A 1803151E
	v_pk_mul_f32 v[140:141], v[30:31], v[140:141]              // 000000006798: D3B1408C 1803191E
	v_pk_mul_f32 v[142:143], v[30:31], v[142:143]              // 0000000067A0: D3B1408E 18031D1E
	v_pk_mul_f32 v[144:145], v[30:31], v[144:145]              // 0000000067A8: D3B14090 1803211E
	v_pk_mul_f32 v[146:147], v[30:31], v[146:147]              // 0000000067B0: D3B14092 1803251E
	v_pk_mul_f32 v[148:149], v[30:31], v[148:149]              // 0000000067B8: D3B14094 1803291E
	v_pk_mul_f32 v[150:151], v[30:31], v[150:151]              // 0000000067C0: D3B14096 18032D1E
	v_pk_mul_f32 v[152:153], v[30:31], v[152:153]              // 0000000067C8: D3B14098 1803311E
	v_pk_mul_f32 v[154:155], v[30:31], v[154:155]              // 0000000067D0: D3B1409A 1803351E
	v_pk_mul_f32 v[156:157], v[30:31], v[156:157]              // 0000000067D8: D3B1409C 1803391E
	v_pk_mul_f32 v[158:159], v[30:31], v[158:159]              // 0000000067E0: D3B1409E 18033D1E
	v_pk_mul_f32 v[160:161], v[30:31], v[160:161]              // 0000000067E8: D3B140A0 1803411E
	v_pk_mul_f32 v[162:163], v[30:31], v[162:163]              // 0000000067F0: D3B140A2 1803451E
	v_pk_mul_f32 v[164:165], v[30:31], v[164:165]              // 0000000067F8: D3B140A4 1803491E
	v_pk_mul_f32 v[166:167], v[30:31], v[166:167]              // 000000006800: D3B140A6 18034D1E
	v_pk_mul_f32 v[168:169], v[30:31], v[168:169]              // 000000006808: D3B140A8 1803511E
	v_pk_mul_f32 v[170:171], v[30:31], v[170:171]              // 000000006810: D3B140AA 1803551E
	v_pk_mul_f32 v[172:173], v[30:31], v[172:173]              // 000000006818: D3B140AC 1803591E
	v_pk_mul_f32 v[174:175], v[30:31], v[174:175]              // 000000006820: D3B140AE 18035D1E
	v_pk_mul_f32 v[176:177], v[30:31], v[176:177]              // 000000006828: D3B140B0 1803611E
	v_mfma_f32_16x16x32_bf16 v[38:41], a[140:143], a[68:71], v[38:41]// 000000006830: D3B50026 1C9A898C
	s_addk_i32 s70, 0x1                                        // 000000006838: B7460001
	s_cmp_lt_i32 s70, s71                                      // 00000000683C: BF044746
	s_cbranch_scc0 label_39C8                                  // 000000006840: BF84FDA1
	s_waitcnt lgkmcnt(0)                                       // 000000006844: BF8CC07F
	v_mul_u32_u24_e64 v32, v23, s68                            // 000000006848: D1080020 00008917
	v_add_u32_e32 v32, v32, v1                                 // 000000006850: 68400320
	v_mfma_f32_16x16x32_bf16 v[50:53], a[144:147], v[42:45], v[50:53]// 000000006854: D3B50032 0CCA5590
	v_mov_b32_e32 v29, v34                                     // 00000000685C: 7E3A0322
	v_max3_f32 v29, v34, v35, v29                              // 000000006860: D1D3001D 04764722
	v_mfma_f32_16x16x32_bf16 v[54:57], a[148:151], v[42:45], v[54:57]// 000000006868: D3B50036 0CDA5594
	ds_read_b64_tr_b16 a[144:145], v14 offset:8192             // 000000006870: DBC62000 9000000E
	ds_read_b64_tr_b16 a[146:147], v14 offset:8448             // 000000006878: DBC62100 9200000E
	v_mfma_f32_16x16x32_bf16 v[58:61], a[152:155], v[42:45], v[58:61]// 000000006880: D3B5003A 0CEA5598
	v_max3_f32 v29, v36, v37, v29                              // 000000006888: D1D3001D 04764B24
	v_max3_f32 v29, v38, v39, v29                              // 000000006890: D1D3001D 04764F26
	v_mfma_f32_16x16x32_bf16 v[62:65], a[156:159], v[42:45], v[62:65]// 000000006898: D3B5003E 0CFA559C
	ds_read_b64_tr_b16 a[148:149], v15 offset:8192             // 0000000068A0: DBC62000 9400000F
	ds_read_b64_tr_b16 a[150:151], v15 offset:8448             // 0000000068A8: DBC62100 9600000F
	v_mfma_f32_16x16x32_bf16 v[66:69], a[160:163], v[42:45], v[66:69]// 0000000068B0: D3B50042 0D0A55A0
	v_max3_f32 v29, v40, v41, v29                              // 0000000068B8: D1D3001D 04765328
	v_mov_b32_e32 v28, v29                                     // 0000000068C0: 7E38031D
	v_mfma_f32_16x16x32_bf16 v[70:73], a[164:167], v[42:45], v[70:73]// 0000000068C4: D3B50046 0D1A55A4
	ds_read_b64_tr_b16 a[152:153], v14 offset:9216             // 0000000068CC: DBC62400 9800000E
	ds_read_b64_tr_b16 a[154:155], v14 offset:9472             // 0000000068D4: DBC62500 9A00000E
	v_mfma_f32_16x16x32_bf16 v[74:77], a[168:171], v[42:45], v[74:77]// 0000000068DC: D3B5004A 0D2A55A8
	v_mov_b32_e32 v29, v29                                     // 0000000068E4: 7E3A031D
	s_nop 1                                                    // 0000000068E8: BF800001
	v_mfma_f32_16x16x32_bf16 v[78:81], a[172:175], v[42:45], v[78:81]// 0000000068EC: D3B5004E 0D3A55AC
	ds_read_b64_tr_b16 a[156:157], v15 offset:9216             // 0000000068F4: DBC62400 9C00000F
	ds_read_b64_tr_b16 a[158:159], v15 offset:9472             // 0000000068FC: DBC62500 9E00000F
	v_mfma_f32_16x16x32_bf16 v[82:85], a[176:179], v[42:45], v[82:85]// 000000006904: D3B50052 0D4A55B0
	v_permlane16_swap_b32_e32 v28, v29                         // 00000000690C: 7E38B31D
	v_mfma_f32_16x16x32_bf16 v[86:89], a[180:183], v[42:45], v[86:89]// 000000006910: D3B50056 0D5A55B4
	ds_read_b64_tr_b16 a[160:161], v14 offset:10240            // 000000006918: DBC62800 A000000E
	ds_read_b64_tr_b16 a[162:163], v14 offset:10496            // 000000006920: DBC62900 A200000E
	v_mfma_f32_16x16x32_bf16 v[90:93], a[184:187], v[42:45], v[90:93]// 000000006928: D3B5005A 0D6A55B8
	v_mov_b32_e32 v31, v28                                     // 000000006930: 7E3E031C
	v_mov_b32_e32 v30, v29                                     // 000000006934: 7E3C031D
	v_mfma_f32_16x16x32_bf16 v[94:97], a[188:191], v[42:45], v[94:97]// 000000006938: D3B5005E 0D7A55BC
	ds_read_b64_tr_b16 a[164:165], v15 offset:10240            // 000000006940: DBC62800 A400000F
	ds_read_b64_tr_b16 a[166:167], v15 offset:10496            // 000000006948: DBC62900 A600000F
	v_mfma_f32_16x16x32_bf16 v[98:101], a[192:195], v[42:45], v[98:101]// 000000006950: D3B50062 0D8A55C0
	s_nop 1                                                    // 000000006958: BF800001
	v_permlane32_swap_b32_e32 v28, v29                         // 00000000695C: 7E38B51D
	v_mfma_f32_16x16x32_bf16 v[102:105], a[196:199], v[42:45], v[102:105]// 000000006960: D3B50066 0D9A55C4
	ds_read_b64_tr_b16 a[168:169], v14 offset:11264            // 000000006968: DBC62C00 A800000E
	ds_read_b64_tr_b16 a[170:171], v14 offset:11520            // 000000006970: DBC62D00 AA00000E
	v_mfma_f32_16x16x32_bf16 v[106:109], a[200:203], v[42:45], v[106:109]// 000000006978: D3B5006A 0DAA55C8
	v_permlane32_swap_b32_e32 v30, v31                         // 000000006980: 7E3CB51F
	v_mfma_f32_16x16x32_bf16 v[110:113], a[204:207], v[42:45], v[110:113]// 000000006984: D3B5006E 0DBA55CC
	ds_read_b64_tr_b16 a[172:173], v15 offset:11264            // 00000000698C: DBC62C00 AC00000F
	ds_read_b64_tr_b16 a[174:175], v15 offset:11520            // 000000006994: DBC62D00 AE00000F
	ds_read_b64_tr_b16 a[176:177], v14 offset:12288            // 00000000699C: DBC63000 B000000E
	ds_read_b64_tr_b16 a[178:179], v14 offset:12544            // 0000000069A4: DBC63100 B200000E
	ds_read_b64_tr_b16 a[180:181], v15 offset:12288            // 0000000069AC: DBC63000 B400000F
	ds_read_b64_tr_b16 a[182:183], v15 offset:12544            // 0000000069B4: DBC63100 B600000F
	ds_read_b64_tr_b16 a[184:185], v14 offset:13312            // 0000000069BC: DBC63400 B800000E
	ds_read_b64_tr_b16 a[186:187], v14 offset:13568            // 0000000069C4: DBC63500 BA00000E
	ds_read_b64_tr_b16 a[188:189], v15 offset:13312            // 0000000069CC: DBC63400 BC00000F
	ds_read_b64_tr_b16 a[190:191], v15 offset:13568            // 0000000069D4: DBC63500 BE00000F
	s_waitcnt lgkmcnt(0)                                       // 0000000069DC: BF8CC07F
	v_mfma_f32_16x16x32_bf16 v[114:117], a[144:147], v[42:45], v[114:117]// 0000000069E0: D3B50072 0DCA5590
	ds_read_b64_tr_b16 a[192:193], v14 offset:14336            // 0000000069E8: DBC63800 C000000E
	ds_read_b64_tr_b16 a[194:195], v14 offset:14592            // 0000000069F0: DBC63900 C200000E
	v_mfma_f32_16x16x32_bf16 v[118:121], a[148:151], v[42:45], v[118:121]// 0000000069F8: D3B50076 0DDA5594
	s_waitcnt vmcnt(10)                                        // 000000006A00: BF8C0F7A
	s_barrier                                                  // 000000006A04: BF8A0000
	ds_read_b128 a[72:75], v19                                 // 000000006A08: DBFE0000 48000013
	ds_read_b128 a[76:79], v19 offset:1024                     // 000000006A10: DBFE0400 4C000013
	v_mfma_f32_16x16x32_bf16 v[122:125], a[152:155], v[42:45], v[122:125]// 000000006A18: D3B5007A 0DEA5598
	ds_read_b64_tr_b16 a[196:197], v15 offset:14336            // 000000006A20: DBC63800 C400000F
	ds_read_b64_tr_b16 a[198:199], v15 offset:14592            // 000000006A28: DBC63900 C600000F
	v_mfma_f32_16x16x32_bf16 v[126:129], a[156:159], v[42:45], v[126:129]// 000000006A30: D3B5007E 0DFA559C
	ds_read_b128 a[80:83], v19 offset:2048                     // 000000006A38: DBFE0800 50000013
	ds_read_b128 a[84:87], v19 offset:3072                     // 000000006A40: DBFE0C00 54000013
	v_mfma_f32_16x16x32_bf16 v[130:133], a[160:163], v[42:45], v[130:133]// 000000006A48: D3B50082 0E0A55A0
	ds_read_b64_tr_b16 a[200:201], v14 offset:15360            // 000000006A50: DBC63C00 C800000E
	ds_read_b64_tr_b16 a[202:203], v14 offset:15616            // 000000006A58: DBC63D00 CA00000E
	v_mfma_f32_16x16x32_bf16 v[134:137], a[164:167], v[42:45], v[134:137]// 000000006A60: D3B50086 0E1A55A4
	ds_read_b128 a[88:91], v19 offset:4096                     // 000000006A68: DBFE1000 58000013
	ds_read_b128 a[92:95], v19 offset:5120                     // 000000006A70: DBFE1400 5C000013
	v_mfma_f32_16x16x32_bf16 v[138:141], a[168:171], v[42:45], v[138:141]// 000000006A78: D3B5008A 0E2A55A8
	ds_read_b64_tr_b16 a[204:205], v15 offset:15360            // 000000006A80: DBC63C00 CC00000F
	ds_read_b64_tr_b16 a[206:207], v15 offset:15616            // 000000006A88: DBC63D00 CE00000F
	v_mfma_f32_16x16x32_bf16 v[142:145], a[172:175], v[42:45], v[142:145]// 000000006A90: D3B5008E 0E3A55AC
	ds_read_b128 a[96:99], v19 offset:6144                     // 000000006A98: DBFE1800 60000013
	ds_read_b128 a[100:103], v19 offset:7168                   // 000000006AA0: DBFE1C00 64000013
	v_mfma_f32_16x16x32_bf16 v[146:149], a[176:179], v[42:45], v[146:149]// 000000006AA8: D3B50092 0E4A55B0
	v_max3_f32 v29, v28, v29, v29                              // 000000006AB0: D1D3001D 04763B1C
	v_max3_f32 v29, v30, v31, v29                              // 000000006AB8: D1D3001D 04763F1E
	v_mfma_f32_16x16x32_bf16 v[150:153], a[180:183], v[42:45], v[150:153]// 000000006AC0: D3B50096 0E5A55B4
	ds_read_b128 a[104:107], v19 offset:8192                   // 000000006AC8: DBFE2000 68000013
	ds_read_b128 a[108:111], v19 offset:9216                   // 000000006AD0: DBFE2400 6C000013
	v_mfma_f32_16x16x32_bf16 v[154:157], a[184:187], v[42:45], v[154:157]// 000000006AD8: D3B5009A 0E6A55B8
	v_mov_b32_e32 v28, 0xff800000                              // 000000006AE0: 7E3802FF FF800000
	v_cmp_eq_u32_e64 s[36:37], v28, v2                         // 000000006AE8: D0CA0024 0002051C
	v_mfma_f32_16x16x32_bf16 v[158:161], a[188:191], v[42:45], v[158:161]// 000000006AF0: D3B5009E 0E7A55BC
	ds_read_b128 a[112:115], v19 offset:10240                  // 000000006AF8: DBFE2800 70000013
	ds_read_b128 a[116:119], v19 offset:11264                  // 000000006B00: DBFE2C00 74000013
	v_mfma_f32_16x16x32_bf16 v[162:165], a[192:195], v[42:45], v[162:165]// 000000006B08: D3B500A2 0E8A55C0
	v_max_f32_e32 v29, v29, v2                                 // 000000006B10: 163A051D
	v_sub_f32_e32 v16, v2, v29                                 // 000000006B14: 04203B02
	v_mfma_f32_16x16x32_bf16 v[166:169], a[196:199], v[42:45], v[166:169]// 000000006B18: D3B500A6 0E9A55C4
	ds_read_b128 a[120:123], v19 offset:12288                  // 000000006B20: DBFE3000 78000013
	ds_read_b128 a[124:127], v19 offset:13312                  // 000000006B28: DBFE3400 7C000013
	v_mfma_f32_16x16x32_bf16 v[170:173], a[200:203], v[42:45], v[170:173]// 000000006B30: D3B500AA 0EAA55C8
	v_cndmask_b32_e64 v16, v16, 0, s[36:37]                    // 000000006B38: D1000010 00910110
	v_mov_b32_e32 v2, v29                                      // 000000006B40: 7E04031D
	v_mfma_f32_16x16x32_bf16 v[174:177], a[204:207], v[42:45], v[174:177]// 000000006B44: D3B500AE 0EBA55CC
	ds_read_b128 a[128:131], v19 offset:14336                  // 000000006B4C: DBFE3800 80000013
	ds_read_b128 a[132:135], v19 offset:15360                  // 000000006B54: DBFE3C00 84000013
	ds_read_b128 a[136:139], v19 offset:16384                  // 000000006B5C: DBFE4000 88000013
	ds_read_b128 a[140:143], v19 offset:17408                  // 000000006B64: DBFE4400 8C000013
	s_waitcnt lgkmcnt(0)                                       // 000000006B6C: BF8CC07F
	v_mfma_f32_16x16x32_bf16 v[42:45], a[72:75], a[0:3], 0     // 000000006B70: D3B5002A 1A020148
	buffer_load_dword v25, v26, s[24:27], 0 offen              // 000000006B78: E0501000 8006191A
	v_mul_f32_e32 v29, s5, v29                                 // 000000006B80: 0A3A3A05
	s_mov_b32 s56, 0x1d000                                     // 000000006B84: BEB800FF 0001D000
	s_mul_i32 s57, s7, 0x2400                                  // 000000006B8C: 9239FF07 00002400
	s_add_u32 m0, s56, s57                                     // 000000006B94: 807C3938
	buffer_load_dwordx4 v32, s[20:23], 0 offen lds             // 000000006B98: E05D1000 80050020
	s_add_i32 m0, m0, 0x3c0                                    // 000000006BA0: 817CFF7C 000003C0
	v_mfma_f32_16x16x32_bf16 v[42:45], a[76:79], a[4:7], v[42:45]// 000000006BA8: D3B5002A 1CAA094C
	buffer_load_dwordx4 v32, s[20:23], 0 offen offset:64 lds   // 000000006BB0: E05D1040 80050020
	s_add_i32 m0, m0, 0x3c0                                    // 000000006BB8: 817CFF7C 000003C0
	v_mfma_f32_16x16x32_bf16 v[42:45], a[80:83], a[8:11], v[42:45]// 000000006BC0: D3B5002A 1CAA1150
	v_mul_f32_e32 v16, s5, v16                                 // 000000006BC8: 0A202005
	v_exp_f32_e32 v16, v16                                     // 000000006BCC: 7E204110
	v_mfma_f32_16x16x32_bf16 v[42:45], a[84:87], a[12:15], v[42:45]// 000000006BD0: D3B5002A 1CAA1954
	v_add_u32_e32 v26, s73, v26                                // 000000006BD8: 68343449
	ds_read_b128 a[72:75], v19 offset:18432                    // 000000006BDC: DBFE4800 48000013
	ds_read_b128 a[76:79], v19 offset:19456                    // 000000006BE4: DBFE4C00 4C000013
	v_fma_f32 v34, v34, s5, -v29                               // 000000006BEC: D1CB0022 84740B22
	v_mfma_f32_16x16x32_bf16 v[42:45], a[88:91], a[16:19], v[42:45]// 000000006BF4: D3B5002A 1CAA2158
	ds_read_b128 a[80:83], v19 offset:20480                    // 000000006BFC: DBFE5000 50000013
	ds_read_b128 a[84:87], v19 offset:21504                    // 000000006C04: DBFE5400 54000013
	v_fma_f32 v35, v35, s5, -v29                               // 000000006C0C: D1CB0023 84740B23
	v_mfma_f32_16x16x32_bf16 v[42:45], a[92:95], a[20:23], v[42:45]// 000000006C14: D3B5002A 1CAA295C
	buffer_load_dwordx4 v32, s[20:23], 0 offen offset:128 lds  // 000000006C1C: E05D1080 80050020
	s_add_i32 m0, m0, 0x3c0                                    // 000000006C24: 817CFF7C 000003C0
	v_mfma_f32_16x16x32_bf16 v[42:45], a[96:99], a[24:27], v[42:45]// 000000006C2C: D3B5002A 1CAA3160
	v_fma_f32 v36, v36, s5, -v29                               // 000000006C34: D1CB0024 84740B24
	v_fma_f32 v37, v37, s5, -v29                               // 000000006C3C: D1CB0025 84740B25
	v_mfma_f32_16x16x32_bf16 v[42:45], a[100:103], a[28:31], v[42:45]// 000000006C44: D3B5002A 1CAA3964
	ds_read_b128 a[88:91], v19 offset:22528                    // 000000006C4C: DBFE5800 58000013
	ds_read_b128 a[92:95], v19 offset:23552                    // 000000006C54: DBFE5C00 5C000013
	v_fma_f32 v38, v38, s5, -v29                               // 000000006C5C: D1CB0026 84740B26
	v_mfma_f32_16x16x32_bf16 v[42:45], a[104:107], a[32:35], v[42:45]// 000000006C64: D3B5002A 1CAA4168
	ds_read_b128 a[96:99], v19 offset:24576                    // 000000006C6C: DBFE6000 60000013
	ds_read_b128 a[100:103], v19 offset:25600                  // 000000006C74: DBFE6400 64000013
	v_fma_f32 v39, v39, s5, -v29                               // 000000006C7C: D1CB0027 84740B27
	v_mfma_f32_16x16x32_bf16 v[42:45], a[108:111], a[36:39], v[42:45]// 000000006C84: D3B5002A 1CAA496C
	buffer_load_dwordx4 v32, s[20:23], 0 offen offset:192 lds  // 000000006C8C: E05D10C0 80050020
	s_add_i32 m0, m0, 0x3c0                                    // 000000006C94: 817CFF7C 000003C0
	v_mfma_f32_16x16x32_bf16 v[42:45], a[112:115], a[40:43], v[42:45]// 000000006C9C: D3B5002A 1CAA5170
	v_fma_f32 v40, v40, s5, -v29                               // 000000006CA4: D1CB0028 84740B28
	v_fma_f32 v41, v41, s5, -v29                               // 000000006CAC: D1CB0029 84740B29
	v_mfma_f32_16x16x32_bf16 v[42:45], a[116:119], a[44:47], v[42:45]// 000000006CB4: D3B5002A 1CAA5974
	v_exp_f32_e32 v34, v34                                     // 000000006CBC: 7E444122
	v_mfma_f32_16x16x32_bf16 v[42:45], a[120:123], a[48:51], v[42:45]// 000000006CC0: D3B5002A 1CAA6178
	ds_read_b128 a[104:107], v19 offset:26624                  // 000000006CC8: DBFE6800 68000013
	ds_read_b128 a[108:111], v19 offset:27648                  // 000000006CD0: DBFE6C00 6C000013
	v_exp_f32_e32 v35, v35                                     // 000000006CD8: 7E464123
	v_mfma_f32_16x16x32_bf16 v[42:45], a[124:127], a[52:55], v[42:45]// 000000006CDC: D3B5002A 1CAA697C
	buffer_load_dwordx4 v32, s[20:23], 0 offen offset:256 lds  // 000000006CE4: E05D1100 80050020
	s_add_i32 m0, m0, 0x3c0                                    // 000000006CEC: 817CFF7C 000003C0
	v_mfma_f32_16x16x32_bf16 v[42:45], a[128:131], a[56:59], v[42:45]// 000000006CF4: D3B5002A 1CAA7180
	v_exp_f32_e32 v36, v36                                     // 000000006CFC: 7E484124
	v_mfma_f32_16x16x32_bf16 v[42:45], a[132:135], a[60:63], v[42:45]// 000000006D00: D3B5002A 1CAA7984
	ds_read_b128 a[112:115], v19 offset:28672                  // 000000006D08: DBFE7000 70000013
	ds_read_b128 a[116:119], v19 offset:29696                  // 000000006D10: DBFE7400 74000013
	v_exp_f32_e32 v37, v37                                     // 000000006D18: 7E4A4125
	v_mfma_f32_16x16x32_bf16 v[42:45], a[136:139], a[64:67], v[42:45]// 000000006D1C: D3B5002A 1CAA8188
	ds_read_b128 a[120:123], v19 offset:30720                  // 000000006D24: DBFE7800 78000013
	ds_read_b128 a[124:127], v19 offset:31744                  // 000000006D2C: DBFE7C00 7C000013
	v_exp_f32_e32 v38, v38                                     // 000000006D34: 7E4C4126
	v_mfma_f32_16x16x32_bf16 v[42:45], a[140:143], a[68:71], v[42:45]// 000000006D38: D3B5002A 1CAA898C
	ds_read_b128 a[128:131], v19 offset:32768                  // 000000006D40: DBFE8000 80000013
	ds_read_b128 a[132:135], v19 offset:33792                  // 000000006D48: DBFE8400 84000013
	v_exp_f32_e32 v39, v39                                     // 000000006D50: 7E4E4127
	ds_read_b128 a[136:139], v19 offset:34816                  // 000000006D54: DBFE8800 88000013
	ds_read_b128 a[140:143], v19 offset:35840                  // 000000006D5C: DBFE8C00 8C000013
	v_exp_f32_e32 v40, v40                                     // 000000006D64: 7E504128
	v_exp_f32_e32 v41, v41                                     // 000000006D68: 7E524129
	v_mul_f32_e32 v4, v16, v4                                  // 000000006D6C: 0A080910
	v_mov_b32_e32 v28, v34                                     // 000000006D70: 7E380322
	v_add_f32_e32 v28, v35, v28                                // 000000006D74: 02383923
	v_add_f32_e32 v28, v36, v28                                // 000000006D78: 02383924
	v_add_f32_e32 v28, v37, v28                                // 000000006D7C: 02383925
	v_add_f32_e32 v28, v38, v28                                // 000000006D80: 02383926
	v_add_f32_e32 v28, v39, v28                                // 000000006D84: 02383927
	v_add_f32_e32 v28, v40, v28                                // 000000006D88: 02383928
	v_add_f32_e32 v28, v41, v28                                // 000000006D8C: 02383929
	v_add_f32_e32 v4, v28, v4                                  // 000000006D90: 0208091C
	v_cvt_pk_bf16_f32 v34, v34, v35                            // 000000006D94: D2680022 00024722
	v_cvt_pk_bf16_f32 v35, v36, v37                            // 000000006D9C: D2680023 00024B24
	v_cvt_pk_bf16_f32 v36, v38, v39                            // 000000006DA4: D2680024 00024F26
	v_cvt_pk_bf16_f32 v37, v40, v41                            // 000000006DAC: D2680025 00025328
	s_nop 0                                                    // 000000006DB4: BF800000
	v_permlane32_swap_b32_e32 v34, v36                         // 000000006DB8: 7E44B524
	v_permlane32_swap_b32_e32 v35, v37                         // 000000006DBC: 7E46B525
	s_nop 0                                                    // 000000006DC0: BF800000
	v_permlane16_swap_b32_e32 v34, v36                         // 000000006DC4: 7E44B324
	v_permlane16_swap_b32_e32 v35, v37                         // 000000006DC8: 7E46B325
	s_waitcnt lgkmcnt(0)                                       // 000000006DCC: BF8CC07F
	v_mfma_f32_16x16x32_bf16 v[46:49], a[72:75], a[0:3], 0     // 000000006DD0: D3B5002E 1A020148
	v_mul_f32_e32 v50, v16, v50                                // 000000006DD8: 0A646510
	v_mul_f32_e32 v51, v16, v51                                // 000000006DDC: 0A666710
	ds_read_b64_tr_b16 a[144:145], v8                          // 000000006DE0: DBC60000 90000008
	ds_read_b64_tr_b16 a[146:147], v8 offset:256               // 000000006DE8: DBC60100 92000008
	v_mfma_f32_16x16x32_bf16 v[46:49], a[76:79], a[4:7], v[46:49]// 000000006DF0: D3B5002E 1CBA094C
	buffer_load_dwordx4 v32, s[20:23], 0 offen offset:320 lds  // 000000006DF8: E05D1140 80050020
	s_add_i32 m0, m0, 0x3c0                                    // 000000006E00: 817CFF7C 000003C0
	v_mul_f32_e32 v52, v16, v52                                // 000000006E08: 0A686910
	v_mul_f32_e32 v53, v16, v53                                // 000000006E0C: 0A6A6B10
	v_mfma_f32_16x16x32_bf16 v[46:49], a[80:83], a[8:11], v[46:49]// 000000006E10: D3B5002E 1CBA1150
	v_mul_f32_e32 v54, v16, v54                                // 000000006E18: 0A6C6D10
	v_mul_f32_e32 v55, v16, v55                                // 000000006E1C: 0A6E6F10
	ds_read_b64_tr_b16 a[148:149], v9                          // 000000006E20: DBC60000 94000009
	ds_read_b64_tr_b16 a[150:151], v9 offset:256               // 000000006E28: DBC60100 96000009
	v_mfma_f32_16x16x32_bf16 v[46:49], a[84:87], a[12:15], v[46:49]// 000000006E30: D3B5002E 1CBA1954
	v_mul_f32_e32 v56, v16, v56                                // 000000006E38: 0A707110
	v_mul_f32_e32 v57, v16, v57                                // 000000006E3C: 0A727310
	ds_read_b64_tr_b16 a[152:153], v8 offset:1024              // 000000006E40: DBC60400 98000008
	ds_read_b64_tr_b16 a[154:155], v8 offset:1280              // 000000006E48: DBC60500 9A000008
	v_mfma_f32_16x16x32_bf16 v[46:49], a[88:91], a[16:19], v[46:49]// 000000006E50: D3B5002E 1CBA2158
	v_mul_f32_e32 v58, v16, v58                                // 000000006E58: 0A747510
	v_mul_f32_e32 v59, v16, v59                                // 000000006E5C: 0A767710
	ds_read_b64_tr_b16 a[156:157], v9 offset:1024              // 000000006E60: DBC60400 9C000009
	ds_read_b64_tr_b16 a[158:159], v9 offset:1280              // 000000006E68: DBC60500 9E000009
	v_mfma_f32_16x16x32_bf16 v[46:49], a[92:95], a[20:23], v[46:49]// 000000006E70: D3B5002E 1CBA295C
	v_mul_f32_e32 v60, v16, v60                                // 000000006E78: 0A787910
	v_mul_f32_e32 v61, v16, v61                                // 000000006E7C: 0A7A7B10
	ds_read_b64_tr_b16 a[160:161], v8 offset:2048              // 000000006E80: DBC60800 A0000008
	ds_read_b64_tr_b16 a[162:163], v8 offset:2304              // 000000006E88: DBC60900 A2000008
	v_mfma_f32_16x16x32_bf16 v[46:49], a[96:99], a[24:27], v[46:49]// 000000006E90: D3B5002E 1CBA3160
	v_mul_f32_e32 v62, v16, v62                                // 000000006E98: 0A7C7D10
	v_mul_f32_e32 v63, v16, v63                                // 000000006E9C: 0A7E7F10
	ds_read_b64_tr_b16 a[164:165], v9 offset:2048              // 000000006EA0: DBC60800 A4000009
	ds_read_b64_tr_b16 a[166:167], v9 offset:2304              // 000000006EA8: DBC60900 A6000009
	v_mfma_f32_16x16x32_bf16 v[46:49], a[100:103], a[28:31], v[46:49]// 000000006EB0: D3B5002E 1CBA3964
	buffer_load_dwordx4 v32, s[20:23], 0 offen offset:384 lds  // 000000006EB8: E05D1180 80050020
	s_add_i32 m0, m0, 0x3c0                                    // 000000006EC0: 817CFF7C 000003C0
	v_mfma_f32_16x16x32_bf16 v[46:49], a[104:107], a[32:35], v[46:49]// 000000006EC8: D3B5002E 1CBA4168
	v_mul_f32_e32 v64, v16, v64                                // 000000006ED0: 0A808110
	v_mul_f32_e32 v65, v16, v65                                // 000000006ED4: 0A828310
	ds_read_b64_tr_b16 a[168:169], v8 offset:3072              // 000000006ED8: DBC60C00 A8000008
	ds_read_b64_tr_b16 a[170:171], v8 offset:3328              // 000000006EE0: DBC60D00 AA000008
	v_mfma_f32_16x16x32_bf16 v[46:49], a[108:111], a[36:39], v[46:49]// 000000006EE8: D3B5002E 1CBA496C
	v_mul_f32_e32 v66, v16, v66                                // 000000006EF0: 0A848510
	v_mul_f32_e32 v67, v16, v67                                // 000000006EF4: 0A868710
	ds_read_b64_tr_b16 a[172:173], v9 offset:3072              // 000000006EF8: DBC60C00 AC000009
	ds_read_b64_tr_b16 a[174:175], v9 offset:3328              // 000000006F00: DBC60D00 AE000009
	v_mfma_f32_16x16x32_bf16 v[46:49], a[112:115], a[40:43], v[46:49]// 000000006F08: D3B5002E 1CBA5170
	v_mul_f32_e32 v68, v16, v68                                // 000000006F10: 0A888910
	v_mul_f32_e32 v69, v16, v69                                // 000000006F14: 0A8A8B10
	ds_read_b64_tr_b16 a[176:177], v8 offset:4096              // 000000006F18: DBC61000 B0000008
	ds_read_b64_tr_b16 a[178:179], v8 offset:4352              // 000000006F20: DBC61100 B2000008
	v_mfma_f32_16x16x32_bf16 v[46:49], a[116:119], a[44:47], v[46:49]// 000000006F28: D3B5002E 1CBA5974
	buffer_load_dwordx4 v32, s[20:23], 0 offen offset:448 lds  // 000000006F30: E05D11C0 80050020
	s_add_i32 m0, m0, 0x3c0                                    // 000000006F38: 817CFF7C 000003C0
	v_mul_f32_e32 v70, v16, v70                                // 000000006F40: 0A8C8D10
	v_mul_f32_e32 v71, v16, v71                                // 000000006F44: 0A8E8F10
	v_mfma_f32_16x16x32_bf16 v[46:49], a[120:123], a[48:51], v[46:49]// 000000006F48: D3B5002E 1CBA6178
	v_mul_f32_e32 v72, v16, v72                                // 000000006F50: 0A909110
	v_mul_f32_e32 v73, v16, v73                                // 000000006F54: 0A929310
	ds_read_b64_tr_b16 a[180:181], v9 offset:4096              // 000000006F58: DBC61000 B4000009
	ds_read_b64_tr_b16 a[182:183], v9 offset:4352              // 000000006F60: DBC61100 B6000009
	v_mfma_f32_16x16x32_bf16 v[46:49], a[124:127], a[52:55], v[46:49]// 000000006F68: D3B5002E 1CBA697C
	v_mul_f32_e32 v74, v16, v74                                // 000000006F70: 0A949510
	v_mul_f32_e32 v75, v16, v75                                // 000000006F74: 0A969710
	ds_read_b64_tr_b16 a[184:185], v8 offset:5120              // 000000006F78: DBC61400 B8000008
	ds_read_b64_tr_b16 a[186:187], v8 offset:5376              // 000000006F80: DBC61500 BA000008
	v_mfma_f32_16x16x32_bf16 v[46:49], a[128:131], a[56:59], v[46:49]// 000000006F88: D3B5002E 1CBA7180
	v_mul_f32_e32 v76, v16, v76                                // 000000006F90: 0A989910
	v_mul_f32_e32 v77, v16, v77                                // 000000006F94: 0A9A9B10
	ds_read_b64_tr_b16 a[188:189], v9 offset:5120              // 000000006F98: DBC61400 BC000009
	ds_read_b64_tr_b16 a[190:191], v9 offset:5376              // 000000006FA0: DBC61500 BE000009
	v_mfma_f32_16x16x32_bf16 v[46:49], a[132:135], a[60:63], v[46:49]// 000000006FA8: D3B5002E 1CBA7984
	buffer_load_dwordx4 v32, s[20:23], 0 offen offset:512 lds  // 000000006FB0: E05D1200 80050020
	s_add_i32 m0, m0, 0x3c0                                    // 000000006FB8: 817CFF7C 000003C0
	v_mfma_f32_16x16x32_bf16 v[46:49], a[136:139], a[64:67], v[46:49]// 000000006FC0: D3B5002E 1CBA8188
	v_mul_f32_e32 v78, v16, v78                                // 000000006FC8: 0A9C9D10
	v_mul_f32_e32 v79, v16, v79                                // 000000006FCC: 0A9E9F10
	ds_read_b64_tr_b16 a[192:193], v8 offset:6144              // 000000006FD0: DBC61800 C0000008
	ds_read_b64_tr_b16 a[194:195], v8 offset:6400              // 000000006FD8: DBC61900 C2000008
	ds_read_b64_tr_b16 a[196:197], v9 offset:6144              // 000000006FE0: DBC61800 C4000009
	ds_read_b64_tr_b16 a[198:199], v9 offset:6400              // 000000006FE8: DBC61900 C6000009
	ds_read_b64_tr_b16 a[200:201], v8 offset:7168              // 000000006FF0: DBC61C00 C8000008
	ds_read_b64_tr_b16 a[202:203], v8 offset:7424              // 000000006FF8: DBC61D00 CA000008
	ds_read_b64_tr_b16 a[204:205], v9 offset:7168              // 000000007000: DBC61C00 CC000009
	ds_read_b64_tr_b16 a[206:207], v9 offset:7424              // 000000007008: DBC61D00 CE000009
	v_mov_b32_e32 v30, v16                                     // 000000007010: 7E3C0310
	v_mov_b32_e32 v31, v16                                     // 000000007014: 7E3E0310
	v_pk_mul_f32 v[80:81], v[30:31], v[80:81]                  // 000000007018: D3B14050 1802A11E
	v_pk_mul_f32 v[82:83], v[30:31], v[82:83]                  // 000000007020: D3B14052 1802A51E
	v_pk_mul_f32 v[84:85], v[30:31], v[84:85]                  // 000000007028: D3B14054 1802A91E
	v_pk_mul_f32 v[86:87], v[30:31], v[86:87]                  // 000000007030: D3B14056 1802AD1E
	v_pk_mul_f32 v[88:89], v[30:31], v[88:89]                  // 000000007038: D3B14058 1802B11E
	v_pk_mul_f32 v[90:91], v[30:31], v[90:91]                  // 000000007040: D3B1405A 1802B51E
	v_pk_mul_f32 v[92:93], v[30:31], v[92:93]                  // 000000007048: D3B1405C 1802B91E
	v_pk_mul_f32 v[94:95], v[30:31], v[94:95]                  // 000000007050: D3B1405E 1802BD1E
	v_pk_mul_f32 v[96:97], v[30:31], v[96:97]                  // 000000007058: D3B14060 1802C11E
	v_pk_mul_f32 v[98:99], v[30:31], v[98:99]                  // 000000007060: D3B14062 1802C51E
	v_pk_mul_f32 v[100:101], v[30:31], v[100:101]              // 000000007068: D3B14064 1802C91E
	v_pk_mul_f32 v[102:103], v[30:31], v[102:103]              // 000000007070: D3B14066 1802CD1E
	v_pk_mul_f32 v[104:105], v[30:31], v[104:105]              // 000000007078: D3B14068 1802D11E
	v_pk_mul_f32 v[106:107], v[30:31], v[106:107]              // 000000007080: D3B1406A 1802D51E
	v_pk_mul_f32 v[108:109], v[30:31], v[108:109]              // 000000007088: D3B1406C 1802D91E
	v_pk_mul_f32 v[110:111], v[30:31], v[110:111]              // 000000007090: D3B1406E 1802DD1E
	v_pk_mul_f32 v[112:113], v[30:31], v[112:113]              // 000000007098: D3B14070 1802E11E
	v_pk_mul_f32 v[114:115], v[30:31], v[114:115]              // 0000000070A0: D3B14072 1802E51E
	v_pk_mul_f32 v[116:117], v[30:31], v[116:117]              // 0000000070A8: D3B14074 1802E91E
	v_pk_mul_f32 v[118:119], v[30:31], v[118:119]              // 0000000070B0: D3B14076 1802ED1E
	v_pk_mul_f32 v[120:121], v[30:31], v[120:121]              // 0000000070B8: D3B14078 1802F11E
	v_pk_mul_f32 v[122:123], v[30:31], v[122:123]              // 0000000070C0: D3B1407A 1802F51E
	v_pk_mul_f32 v[124:125], v[30:31], v[124:125]              // 0000000070C8: D3B1407C 1802F91E
	v_pk_mul_f32 v[126:127], v[30:31], v[126:127]              // 0000000070D0: D3B1407E 1802FD1E
	v_pk_mul_f32 v[128:129], v[30:31], v[128:129]              // 0000000070D8: D3B14080 1803011E
	v_pk_mul_f32 v[130:131], v[30:31], v[130:131]              // 0000000070E0: D3B14082 1803051E
	v_pk_mul_f32 v[132:133], v[30:31], v[132:133]              // 0000000070E8: D3B14084 1803091E
	v_pk_mul_f32 v[134:135], v[30:31], v[134:135]              // 0000000070F0: D3B14086 18030D1E
	v_pk_mul_f32 v[136:137], v[30:31], v[136:137]              // 0000000070F8: D3B14088 1803111E
	v_pk_mul_f32 v[138:139], v[30:31], v[138:139]              // 000000007100: D3B1408A 1803151E
	v_pk_mul_f32 v[140:141], v[30:31], v[140:141]              // 000000007108: D3B1408C 1803191E
	v_pk_mul_f32 v[142:143], v[30:31], v[142:143]              // 000000007110: D3B1408E 18031D1E
	v_pk_mul_f32 v[144:145], v[30:31], v[144:145]              // 000000007118: D3B14090 1803211E
	v_pk_mul_f32 v[146:147], v[30:31], v[146:147]              // 000000007120: D3B14092 1803251E
	v_pk_mul_f32 v[148:149], v[30:31], v[148:149]              // 000000007128: D3B14094 1803291E
	v_pk_mul_f32 v[150:151], v[30:31], v[150:151]              // 000000007130: D3B14096 18032D1E
	v_pk_mul_f32 v[152:153], v[30:31], v[152:153]              // 000000007138: D3B14098 1803311E
	v_pk_mul_f32 v[154:155], v[30:31], v[154:155]              // 000000007140: D3B1409A 1803351E
	v_pk_mul_f32 v[156:157], v[30:31], v[156:157]              // 000000007148: D3B1409C 1803391E
	v_pk_mul_f32 v[158:159], v[30:31], v[158:159]              // 000000007150: D3B1409E 18033D1E
	v_pk_mul_f32 v[160:161], v[30:31], v[160:161]              // 000000007158: D3B140A0 1803411E
	v_pk_mul_f32 v[162:163], v[30:31], v[162:163]              // 000000007160: D3B140A2 1803451E
	v_pk_mul_f32 v[164:165], v[30:31], v[164:165]              // 000000007168: D3B140A4 1803491E
	v_pk_mul_f32 v[166:167], v[30:31], v[166:167]              // 000000007170: D3B140A6 18034D1E
	v_pk_mul_f32 v[168:169], v[30:31], v[168:169]              // 000000007178: D3B140A8 1803511E
	v_pk_mul_f32 v[170:171], v[30:31], v[170:171]              // 000000007180: D3B140AA 1803551E
	v_pk_mul_f32 v[172:173], v[30:31], v[172:173]              // 000000007188: D3B140AC 1803591E
	v_pk_mul_f32 v[174:175], v[30:31], v[174:175]              // 000000007190: D3B140AE 18035D1E
	v_pk_mul_f32 v[176:177], v[30:31], v[176:177]              // 000000007198: D3B140B0 1803611E
	v_mfma_f32_16x16x32_bf16 v[46:49], a[140:143], a[68:71], v[46:49]// 0000000071A0: D3B5002E 1CBA898C
	s_addk_i32 s70, 0x1                                        // 0000000071A8: B7460001
	s_cmp_lt_i32 s70, s71                                      // 0000000071AC: BF044746
	s_cbranch_scc0 label_39C8                                  // 0000000071B0: BF84FB45
	s_waitcnt lgkmcnt(0)                                       // 0000000071B4: BF8CC07F
	v_mul_u32_u24_e64 v32, v24, s68                            // 0000000071B8: D1080020 00008918
	v_add_u32_e32 v32, v32, v1                                 // 0000000071C0: 68400320
	v_mfma_f32_16x16x32_bf16 v[50:53], a[144:147], v[34:37], v[50:53]// 0000000071C4: D3B50032 0CCA4590
	v_mov_b32_e32 v29, v42                                     // 0000000071CC: 7E3A032A
	v_max3_f32 v29, v42, v43, v29                              // 0000000071D0: D1D3001D 0476572A
	v_mfma_f32_16x16x32_bf16 v[54:57], a[148:151], v[34:37], v[54:57]// 0000000071D8: D3B50036 0CDA4594
	ds_read_b64_tr_b16 a[144:145], v8 offset:8192              // 0000000071E0: DBC62000 90000008
	ds_read_b64_tr_b16 a[146:147], v8 offset:8448              // 0000000071E8: DBC62100 92000008
	v_mfma_f32_16x16x32_bf16 v[58:61], a[152:155], v[34:37], v[58:61]// 0000000071F0: D3B5003A 0CEA4598
	v_max3_f32 v29, v44, v45, v29                              // 0000000071F8: D1D3001D 04765B2C
	v_max3_f32 v29, v46, v47, v29                              // 000000007200: D1D3001D 04765F2E
	v_mfma_f32_16x16x32_bf16 v[62:65], a[156:159], v[34:37], v[62:65]// 000000007208: D3B5003E 0CFA459C
	ds_read_b64_tr_b16 a[148:149], v9 offset:8192              // 000000007210: DBC62000 94000009
	ds_read_b64_tr_b16 a[150:151], v9 offset:8448              // 000000007218: DBC62100 96000009
	v_mfma_f32_16x16x32_bf16 v[66:69], a[160:163], v[34:37], v[66:69]// 000000007220: D3B50042 0D0A45A0
	v_max3_f32 v29, v48, v49, v29                              // 000000007228: D1D3001D 04766330
	v_mov_b32_e32 v28, v29                                     // 000000007230: 7E38031D
	v_mfma_f32_16x16x32_bf16 v[70:73], a[164:167], v[34:37], v[70:73]// 000000007234: D3B50046 0D1A45A4
	ds_read_b64_tr_b16 a[152:153], v8 offset:9216              // 00000000723C: DBC62400 98000008
	ds_read_b64_tr_b16 a[154:155], v8 offset:9472              // 000000007244: DBC62500 9A000008
	v_mfma_f32_16x16x32_bf16 v[74:77], a[168:171], v[34:37], v[74:77]// 00000000724C: D3B5004A 0D2A45A8
	v_mov_b32_e32 v29, v29                                     // 000000007254: 7E3A031D
	s_nop 1                                                    // 000000007258: BF800001
	v_mfma_f32_16x16x32_bf16 v[78:81], a[172:175], v[34:37], v[78:81]// 00000000725C: D3B5004E 0D3A45AC
	ds_read_b64_tr_b16 a[156:157], v9 offset:9216              // 000000007264: DBC62400 9C000009
	ds_read_b64_tr_b16 a[158:159], v9 offset:9472              // 00000000726C: DBC62500 9E000009
	v_mfma_f32_16x16x32_bf16 v[82:85], a[176:179], v[34:37], v[82:85]// 000000007274: D3B50052 0D4A45B0
	v_permlane16_swap_b32_e32 v28, v29                         // 00000000727C: 7E38B31D
	v_mfma_f32_16x16x32_bf16 v[86:89], a[180:183], v[34:37], v[86:89]// 000000007280: D3B50056 0D5A45B4
	ds_read_b64_tr_b16 a[160:161], v8 offset:10240             // 000000007288: DBC62800 A0000008
	ds_read_b64_tr_b16 a[162:163], v8 offset:10496             // 000000007290: DBC62900 A2000008
	v_mfma_f32_16x16x32_bf16 v[90:93], a[184:187], v[34:37], v[90:93]// 000000007298: D3B5005A 0D6A45B8
	v_mov_b32_e32 v31, v28                                     // 0000000072A0: 7E3E031C
	v_mov_b32_e32 v30, v29                                     // 0000000072A4: 7E3C031D
	v_mfma_f32_16x16x32_bf16 v[94:97], a[188:191], v[34:37], v[94:97]// 0000000072A8: D3B5005E 0D7A45BC
	ds_read_b64_tr_b16 a[164:165], v9 offset:10240             // 0000000072B0: DBC62800 A4000009
	ds_read_b64_tr_b16 a[166:167], v9 offset:10496             // 0000000072B8: DBC62900 A6000009
	v_mfma_f32_16x16x32_bf16 v[98:101], a[192:195], v[34:37], v[98:101]// 0000000072C0: D3B50062 0D8A45C0
	s_nop 1                                                    // 0000000072C8: BF800001
	v_permlane32_swap_b32_e32 v28, v29                         // 0000000072CC: 7E38B51D
	v_mfma_f32_16x16x32_bf16 v[102:105], a[196:199], v[34:37], v[102:105]// 0000000072D0: D3B50066 0D9A45C4
	ds_read_b64_tr_b16 a[168:169], v8 offset:11264             // 0000000072D8: DBC62C00 A8000008
	ds_read_b64_tr_b16 a[170:171], v8 offset:11520             // 0000000072E0: DBC62D00 AA000008
	v_mfma_f32_16x16x32_bf16 v[106:109], a[200:203], v[34:37], v[106:109]// 0000000072E8: D3B5006A 0DAA45C8
	v_permlane32_swap_b32_e32 v30, v31                         // 0000000072F0: 7E3CB51F
	v_mfma_f32_16x16x32_bf16 v[110:113], a[204:207], v[34:37], v[110:113]// 0000000072F4: D3B5006E 0DBA45CC
	ds_read_b64_tr_b16 a[172:173], v9 offset:11264             // 0000000072FC: DBC62C00 AC000009
	ds_read_b64_tr_b16 a[174:175], v9 offset:11520             // 000000007304: DBC62D00 AE000009
	ds_read_b64_tr_b16 a[176:177], v8 offset:12288             // 00000000730C: DBC63000 B0000008
	ds_read_b64_tr_b16 a[178:179], v8 offset:12544             // 000000007314: DBC63100 B2000008
	ds_read_b64_tr_b16 a[180:181], v9 offset:12288             // 00000000731C: DBC63000 B4000009
	ds_read_b64_tr_b16 a[182:183], v9 offset:12544             // 000000007324: DBC63100 B6000009
	ds_read_b64_tr_b16 a[184:185], v8 offset:13312             // 00000000732C: DBC63400 B8000008
	ds_read_b64_tr_b16 a[186:187], v8 offset:13568             // 000000007334: DBC63500 BA000008
	ds_read_b64_tr_b16 a[188:189], v9 offset:13312             // 00000000733C: DBC63400 BC000009
	ds_read_b64_tr_b16 a[190:191], v9 offset:13568             // 000000007344: DBC63500 BE000009
	s_waitcnt lgkmcnt(0)                                       // 00000000734C: BF8CC07F
	v_mfma_f32_16x16x32_bf16 v[114:117], a[144:147], v[34:37], v[114:117]// 000000007350: D3B50072 0DCA4590
	ds_read_b64_tr_b16 a[192:193], v8 offset:14336             // 000000007358: DBC63800 C0000008
	ds_read_b64_tr_b16 a[194:195], v8 offset:14592             // 000000007360: DBC63900 C2000008
	v_mfma_f32_16x16x32_bf16 v[118:121], a[148:151], v[34:37], v[118:121]// 000000007368: D3B50076 0DDA4594
	s_waitcnt vmcnt(10)                                        // 000000007370: BF8C0F7A
	s_barrier                                                  // 000000007374: BF8A0000
	ds_read_b128 a[72:75], v20                                 // 000000007378: DBFE0000 48000014
	ds_read_b128 a[76:79], v20 offset:1024                     // 000000007380: DBFE0400 4C000014
	v_mfma_f32_16x16x32_bf16 v[122:125], a[152:155], v[34:37], v[122:125]// 000000007388: D3B5007A 0DEA4598
	ds_read_b64_tr_b16 a[196:197], v9 offset:14336             // 000000007390: DBC63800 C4000009
	ds_read_b64_tr_b16 a[198:199], v9 offset:14592             // 000000007398: DBC63900 C6000009
	v_mfma_f32_16x16x32_bf16 v[126:129], a[156:159], v[34:37], v[126:129]// 0000000073A0: D3B5007E 0DFA459C
	ds_read_b128 a[80:83], v20 offset:2048                     // 0000000073A8: DBFE0800 50000014
	ds_read_b128 a[84:87], v20 offset:3072                     // 0000000073B0: DBFE0C00 54000014
	v_mfma_f32_16x16x32_bf16 v[130:133], a[160:163], v[34:37], v[130:133]// 0000000073B8: D3B50082 0E0A45A0
	ds_read_b64_tr_b16 a[200:201], v8 offset:15360             // 0000000073C0: DBC63C00 C8000008
	ds_read_b64_tr_b16 a[202:203], v8 offset:15616             // 0000000073C8: DBC63D00 CA000008
	v_mfma_f32_16x16x32_bf16 v[134:137], a[164:167], v[34:37], v[134:137]// 0000000073D0: D3B50086 0E1A45A4
	ds_read_b128 a[88:91], v20 offset:4096                     // 0000000073D8: DBFE1000 58000014
	ds_read_b128 a[92:95], v20 offset:5120                     // 0000000073E0: DBFE1400 5C000014
	v_mfma_f32_16x16x32_bf16 v[138:141], a[168:171], v[34:37], v[138:141]// 0000000073E8: D3B5008A 0E2A45A8
	ds_read_b64_tr_b16 a[204:205], v9 offset:15360             // 0000000073F0: DBC63C00 CC000009
	ds_read_b64_tr_b16 a[206:207], v9 offset:15616             // 0000000073F8: DBC63D00 CE000009
	v_mfma_f32_16x16x32_bf16 v[142:145], a[172:175], v[34:37], v[142:145]// 000000007400: D3B5008E 0E3A45AC
	ds_read_b128 a[96:99], v20 offset:6144                     // 000000007408: DBFE1800 60000014
	ds_read_b128 a[100:103], v20 offset:7168                   // 000000007410: DBFE1C00 64000014
	v_mfma_f32_16x16x32_bf16 v[146:149], a[176:179], v[34:37], v[146:149]// 000000007418: D3B50092 0E4A45B0
	v_max3_f32 v29, v28, v29, v29                              // 000000007420: D1D3001D 04763B1C
	v_max3_f32 v29, v30, v31, v29                              // 000000007428: D1D3001D 04763F1E
	v_mfma_f32_16x16x32_bf16 v[150:153], a[180:183], v[34:37], v[150:153]// 000000007430: D3B50096 0E5A45B4
	ds_read_b128 a[104:107], v20 offset:8192                   // 000000007438: DBFE2000 68000014
	ds_read_b128 a[108:111], v20 offset:9216                   // 000000007440: DBFE2400 6C000014
	v_mfma_f32_16x16x32_bf16 v[154:157], a[184:187], v[34:37], v[154:157]// 000000007448: D3B5009A 0E6A45B8
	v_mov_b32_e32 v28, 0xff800000                              // 000000007450: 7E3802FF FF800000
	v_cmp_eq_u32_e64 s[36:37], v28, v2                         // 000000007458: D0CA0024 0002051C
	v_mfma_f32_16x16x32_bf16 v[158:161], a[188:191], v[34:37], v[158:161]// 000000007460: D3B5009E 0E7A45BC
	ds_read_b128 a[112:115], v20 offset:10240                  // 000000007468: DBFE2800 70000014
	ds_read_b128 a[116:119], v20 offset:11264                  // 000000007470: DBFE2C00 74000014
	v_mfma_f32_16x16x32_bf16 v[162:165], a[192:195], v[34:37], v[162:165]// 000000007478: D3B500A2 0E8A45C0
	v_max_f32_e32 v29, v29, v2                                 // 000000007480: 163A051D
	v_sub_f32_e32 v16, v2, v29                                 // 000000007484: 04203B02
	v_mfma_f32_16x16x32_bf16 v[166:169], a[196:199], v[34:37], v[166:169]// 000000007488: D3B500A6 0E9A45C4
	ds_read_b128 a[120:123], v20 offset:12288                  // 000000007490: DBFE3000 78000014
	ds_read_b128 a[124:127], v20 offset:13312                  // 000000007498: DBFE3400 7C000014
	v_mfma_f32_16x16x32_bf16 v[170:173], a[200:203], v[34:37], v[170:173]// 0000000074A0: D3B500AA 0EAA45C8
	v_cndmask_b32_e64 v16, v16, 0, s[36:37]                    // 0000000074A8: D1000010 00910110
	v_mov_b32_e32 v2, v29                                      // 0000000074B0: 7E04031D
	v_mfma_f32_16x16x32_bf16 v[174:177], a[204:207], v[34:37], v[174:177]// 0000000074B4: D3B500AE 0EBA45CC
	ds_read_b128 a[128:131], v20 offset:14336                  // 0000000074BC: DBFE3800 80000014
	ds_read_b128 a[132:135], v20 offset:15360                  // 0000000074C4: DBFE3C00 84000014
	ds_read_b128 a[136:139], v20 offset:16384                  // 0000000074CC: DBFE4000 88000014
	ds_read_b128 a[140:143], v20 offset:17408                  // 0000000074D4: DBFE4400 8C000014
	s_waitcnt lgkmcnt(0)                                       // 0000000074DC: BF8CC07F
	v_mfma_f32_16x16x32_bf16 v[34:37], a[72:75], a[0:3], 0     // 0000000074E0: D3B50022 1A020148
	buffer_load_dword v22, v26, s[24:27], 0 offen              // 0000000074E8: E0501000 8006161A
	v_mul_f32_e32 v29, s5, v29                                 // 0000000074F0: 0A3A3A05
	s_mov_b32 s56, 0x2000                                      // 0000000074F4: BEB800FF 00002000
	s_mul_i32 s57, s7, 0x2400                                  // 0000000074FC: 9239FF07 00002400
	s_add_u32 m0, s56, s57                                     // 000000007504: 807C3938
	buffer_load_dwordx4 v32, s[20:23], 0 offen lds             // 000000007508: E05D1000 80050020
	s_add_i32 m0, m0, 0x3c0                                    // 000000007510: 817CFF7C 000003C0
	v_mfma_f32_16x16x32_bf16 v[34:37], a[76:79], a[4:7], v[34:37]// 000000007518: D3B50022 1C8A094C
	buffer_load_dwordx4 v32, s[20:23], 0 offen offset:64 lds   // 000000007520: E05D1040 80050020
	s_add_i32 m0, m0, 0x3c0                                    // 000000007528: 817CFF7C 000003C0
	v_mfma_f32_16x16x32_bf16 v[34:37], a[80:83], a[8:11], v[34:37]// 000000007530: D3B50022 1C8A1150
	v_mul_f32_e32 v16, s5, v16                                 // 000000007538: 0A202005
	v_exp_f32_e32 v16, v16                                     // 00000000753C: 7E204110
	v_mfma_f32_16x16x32_bf16 v[34:37], a[84:87], a[12:15], v[34:37]// 000000007540: D3B50022 1C8A1954
	v_add_u32_e32 v26, s73, v26                                // 000000007548: 68343449
	ds_read_b128 a[72:75], v20 offset:18432                    // 00000000754C: DBFE4800 48000014
	ds_read_b128 a[76:79], v20 offset:19456                    // 000000007554: DBFE4C00 4C000014
	v_fma_f32 v42, v42, s5, -v29                               // 00000000755C: D1CB002A 84740B2A
	v_mfma_f32_16x16x32_bf16 v[34:37], a[88:91], a[16:19], v[34:37]// 000000007564: D3B50022 1C8A2158
	ds_read_b128 a[80:83], v20 offset:20480                    // 00000000756C: DBFE5000 50000014
	ds_read_b128 a[84:87], v20 offset:21504                    // 000000007574: DBFE5400 54000014
	v_fma_f32 v43, v43, s5, -v29                               // 00000000757C: D1CB002B 84740B2B
	v_mfma_f32_16x16x32_bf16 v[34:37], a[92:95], a[20:23], v[34:37]// 000000007584: D3B50022 1C8A295C
	buffer_load_dwordx4 v32, s[20:23], 0 offen offset:128 lds  // 00000000758C: E05D1080 80050020
	s_add_i32 m0, m0, 0x3c0                                    // 000000007594: 817CFF7C 000003C0
	v_mfma_f32_16x16x32_bf16 v[34:37], a[96:99], a[24:27], v[34:37]// 00000000759C: D3B50022 1C8A3160
	v_fma_f32 v44, v44, s5, -v29                               // 0000000075A4: D1CB002C 84740B2C
	v_fma_f32 v45, v45, s5, -v29                               // 0000000075AC: D1CB002D 84740B2D
	v_mfma_f32_16x16x32_bf16 v[34:37], a[100:103], a[28:31], v[34:37]// 0000000075B4: D3B50022 1C8A3964
	ds_read_b128 a[88:91], v20 offset:22528                    // 0000000075BC: DBFE5800 58000014
	ds_read_b128 a[92:95], v20 offset:23552                    // 0000000075C4: DBFE5C00 5C000014
	v_fma_f32 v46, v46, s5, -v29                               // 0000000075CC: D1CB002E 84740B2E
	v_mfma_f32_16x16x32_bf16 v[34:37], a[104:107], a[32:35], v[34:37]// 0000000075D4: D3B50022 1C8A4168
	ds_read_b128 a[96:99], v20 offset:24576                    // 0000000075DC: DBFE6000 60000014
	ds_read_b128 a[100:103], v20 offset:25600                  // 0000000075E4: DBFE6400 64000014
	v_fma_f32 v47, v47, s5, -v29                               // 0000000075EC: D1CB002F 84740B2F
	v_mfma_f32_16x16x32_bf16 v[34:37], a[108:111], a[36:39], v[34:37]// 0000000075F4: D3B50022 1C8A496C
	buffer_load_dwordx4 v32, s[20:23], 0 offen offset:192 lds  // 0000000075FC: E05D10C0 80050020
	s_add_i32 m0, m0, 0x3c0                                    // 000000007604: 817CFF7C 000003C0
	v_mfma_f32_16x16x32_bf16 v[34:37], a[112:115], a[40:43], v[34:37]// 00000000760C: D3B50022 1C8A5170
	v_fma_f32 v48, v48, s5, -v29                               // 000000007614: D1CB0030 84740B30
	v_fma_f32 v49, v49, s5, -v29                               // 00000000761C: D1CB0031 84740B31
	v_mfma_f32_16x16x32_bf16 v[34:37], a[116:119], a[44:47], v[34:37]// 000000007624: D3B50022 1C8A5974
	v_exp_f32_e32 v42, v42                                     // 00000000762C: 7E54412A
	v_mfma_f32_16x16x32_bf16 v[34:37], a[120:123], a[48:51], v[34:37]// 000000007630: D3B50022 1C8A6178
	ds_read_b128 a[104:107], v20 offset:26624                  // 000000007638: DBFE6800 68000014
	ds_read_b128 a[108:111], v20 offset:27648                  // 000000007640: DBFE6C00 6C000014
	v_exp_f32_e32 v43, v43                                     // 000000007648: 7E56412B
	v_mfma_f32_16x16x32_bf16 v[34:37], a[124:127], a[52:55], v[34:37]// 00000000764C: D3B50022 1C8A697C
	buffer_load_dwordx4 v32, s[20:23], 0 offen offset:256 lds  // 000000007654: E05D1100 80050020
	s_add_i32 m0, m0, 0x3c0                                    // 00000000765C: 817CFF7C 000003C0
	v_mfma_f32_16x16x32_bf16 v[34:37], a[128:131], a[56:59], v[34:37]// 000000007664: D3B50022 1C8A7180
	v_exp_f32_e32 v44, v44                                     // 00000000766C: 7E58412C
	v_mfma_f32_16x16x32_bf16 v[34:37], a[132:135], a[60:63], v[34:37]// 000000007670: D3B50022 1C8A7984
	ds_read_b128 a[112:115], v20 offset:28672                  // 000000007678: DBFE7000 70000014
	ds_read_b128 a[116:119], v20 offset:29696                  // 000000007680: DBFE7400 74000014
	v_exp_f32_e32 v45, v45                                     // 000000007688: 7E5A412D
	v_mfma_f32_16x16x32_bf16 v[34:37], a[136:139], a[64:67], v[34:37]// 00000000768C: D3B50022 1C8A8188
	ds_read_b128 a[120:123], v20 offset:30720                  // 000000007694: DBFE7800 78000014
	ds_read_b128 a[124:127], v20 offset:31744                  // 00000000769C: DBFE7C00 7C000014
	v_exp_f32_e32 v46, v46                                     // 0000000076A4: 7E5C412E
	v_mfma_f32_16x16x32_bf16 v[34:37], a[140:143], a[68:71], v[34:37]// 0000000076A8: D3B50022 1C8A898C
	ds_read_b128 a[128:131], v20 offset:32768                  // 0000000076B0: DBFE8000 80000014
	ds_read_b128 a[132:135], v20 offset:33792                  // 0000000076B8: DBFE8400 84000014
	v_exp_f32_e32 v47, v47                                     // 0000000076C0: 7E5E412F
	ds_read_b128 a[136:139], v20 offset:34816                  // 0000000076C4: DBFE8800 88000014
	ds_read_b128 a[140:143], v20 offset:35840                  // 0000000076CC: DBFE8C00 8C000014
	v_exp_f32_e32 v48, v48                                     // 0000000076D4: 7E604130
	v_exp_f32_e32 v49, v49                                     // 0000000076D8: 7E624131
	v_mul_f32_e32 v4, v16, v4                                  // 0000000076DC: 0A080910
	v_mov_b32_e32 v28, v42                                     // 0000000076E0: 7E38032A
	v_add_f32_e32 v28, v43, v28                                // 0000000076E4: 0238392B
	v_add_f32_e32 v28, v44, v28                                // 0000000076E8: 0238392C
	v_add_f32_e32 v28, v45, v28                                // 0000000076EC: 0238392D
	v_add_f32_e32 v28, v46, v28                                // 0000000076F0: 0238392E
	v_add_f32_e32 v28, v47, v28                                // 0000000076F4: 0238392F
	v_add_f32_e32 v28, v48, v28                                // 0000000076F8: 02383930
	v_add_f32_e32 v28, v49, v28                                // 0000000076FC: 02383931
	v_add_f32_e32 v4, v28, v4                                  // 000000007700: 0208091C
	v_cvt_pk_bf16_f32 v42, v42, v43                            // 000000007704: D268002A 0002572A
	v_cvt_pk_bf16_f32 v43, v44, v45                            // 00000000770C: D268002B 00025B2C
	v_cvt_pk_bf16_f32 v44, v46, v47                            // 000000007714: D268002C 00025F2E
	v_cvt_pk_bf16_f32 v45, v48, v49                            // 00000000771C: D268002D 00026330
	s_nop 0                                                    // 000000007724: BF800000
	v_permlane32_swap_b32_e32 v42, v44                         // 000000007728: 7E54B52C
	v_permlane32_swap_b32_e32 v43, v45                         // 00000000772C: 7E56B52D
	s_nop 0                                                    // 000000007730: BF800000
	v_permlane16_swap_b32_e32 v42, v44                         // 000000007734: 7E54B32C
	v_permlane16_swap_b32_e32 v43, v45                         // 000000007738: 7E56B32D
	s_waitcnt lgkmcnt(0)                                       // 00000000773C: BF8CC07F
	v_mfma_f32_16x16x32_bf16 v[38:41], a[72:75], a[0:3], 0     // 000000007740: D3B50026 1A020148
	v_mul_f32_e32 v50, v16, v50                                // 000000007748: 0A646510
	v_mul_f32_e32 v51, v16, v51                                // 00000000774C: 0A666710
	ds_read_b64_tr_b16 a[144:145], v10                         // 000000007750: DBC60000 9000000A
	ds_read_b64_tr_b16 a[146:147], v10 offset:256              // 000000007758: DBC60100 9200000A
	v_mfma_f32_16x16x32_bf16 v[38:41], a[76:79], a[4:7], v[38:41]// 000000007760: D3B50026 1C9A094C
	buffer_load_dwordx4 v32, s[20:23], 0 offen offset:320 lds  // 000000007768: E05D1140 80050020
	s_add_i32 m0, m0, 0x3c0                                    // 000000007770: 817CFF7C 000003C0
	v_mul_f32_e32 v52, v16, v52                                // 000000007778: 0A686910
	v_mul_f32_e32 v53, v16, v53                                // 00000000777C: 0A6A6B10
	v_mfma_f32_16x16x32_bf16 v[38:41], a[80:83], a[8:11], v[38:41]// 000000007780: D3B50026 1C9A1150
	v_mul_f32_e32 v54, v16, v54                                // 000000007788: 0A6C6D10
	v_mul_f32_e32 v55, v16, v55                                // 00000000778C: 0A6E6F10
	ds_read_b64_tr_b16 a[148:149], v11                         // 000000007790: DBC60000 9400000B
	ds_read_b64_tr_b16 a[150:151], v11 offset:256              // 000000007798: DBC60100 9600000B
	v_mfma_f32_16x16x32_bf16 v[38:41], a[84:87], a[12:15], v[38:41]// 0000000077A0: D3B50026 1C9A1954
	v_mul_f32_e32 v56, v16, v56                                // 0000000077A8: 0A707110
	v_mul_f32_e32 v57, v16, v57                                // 0000000077AC: 0A727310
	ds_read_b64_tr_b16 a[152:153], v10 offset:1024             // 0000000077B0: DBC60400 9800000A
	ds_read_b64_tr_b16 a[154:155], v10 offset:1280             // 0000000077B8: DBC60500 9A00000A
	v_mfma_f32_16x16x32_bf16 v[38:41], a[88:91], a[16:19], v[38:41]// 0000000077C0: D3B50026 1C9A2158
	v_mul_f32_e32 v58, v16, v58                                // 0000000077C8: 0A747510
	v_mul_f32_e32 v59, v16, v59                                // 0000000077CC: 0A767710
	ds_read_b64_tr_b16 a[156:157], v11 offset:1024             // 0000000077D0: DBC60400 9C00000B
	ds_read_b64_tr_b16 a[158:159], v11 offset:1280             // 0000000077D8: DBC60500 9E00000B
	v_mfma_f32_16x16x32_bf16 v[38:41], a[92:95], a[20:23], v[38:41]// 0000000077E0: D3B50026 1C9A295C
	v_mul_f32_e32 v60, v16, v60                                // 0000000077E8: 0A787910
	v_mul_f32_e32 v61, v16, v61                                // 0000000077EC: 0A7A7B10
	ds_read_b64_tr_b16 a[160:161], v10 offset:2048             // 0000000077F0: DBC60800 A000000A
	ds_read_b64_tr_b16 a[162:163], v10 offset:2304             // 0000000077F8: DBC60900 A200000A
	v_mfma_f32_16x16x32_bf16 v[38:41], a[96:99], a[24:27], v[38:41]// 000000007800: D3B50026 1C9A3160
	v_mul_f32_e32 v62, v16, v62                                // 000000007808: 0A7C7D10
	v_mul_f32_e32 v63, v16, v63                                // 00000000780C: 0A7E7F10
	ds_read_b64_tr_b16 a[164:165], v11 offset:2048             // 000000007810: DBC60800 A400000B
	ds_read_b64_tr_b16 a[166:167], v11 offset:2304             // 000000007818: DBC60900 A600000B
	v_mfma_f32_16x16x32_bf16 v[38:41], a[100:103], a[28:31], v[38:41]// 000000007820: D3B50026 1C9A3964
	buffer_load_dwordx4 v32, s[20:23], 0 offen offset:384 lds  // 000000007828: E05D1180 80050020
	s_add_i32 m0, m0, 0x3c0                                    // 000000007830: 817CFF7C 000003C0
	v_mfma_f32_16x16x32_bf16 v[38:41], a[104:107], a[32:35], v[38:41]// 000000007838: D3B50026 1C9A4168
	v_mul_f32_e32 v64, v16, v64                                // 000000007840: 0A808110
	v_mul_f32_e32 v65, v16, v65                                // 000000007844: 0A828310
	ds_read_b64_tr_b16 a[168:169], v10 offset:3072             // 000000007848: DBC60C00 A800000A
	ds_read_b64_tr_b16 a[170:171], v10 offset:3328             // 000000007850: DBC60D00 AA00000A
	v_mfma_f32_16x16x32_bf16 v[38:41], a[108:111], a[36:39], v[38:41]// 000000007858: D3B50026 1C9A496C
	v_mul_f32_e32 v66, v16, v66                                // 000000007860: 0A848510
	v_mul_f32_e32 v67, v16, v67                                // 000000007864: 0A868710
	ds_read_b64_tr_b16 a[172:173], v11 offset:3072             // 000000007868: DBC60C00 AC00000B
	ds_read_b64_tr_b16 a[174:175], v11 offset:3328             // 000000007870: DBC60D00 AE00000B
	v_mfma_f32_16x16x32_bf16 v[38:41], a[112:115], a[40:43], v[38:41]// 000000007878: D3B50026 1C9A5170
	v_mul_f32_e32 v68, v16, v68                                // 000000007880: 0A888910
	v_mul_f32_e32 v69, v16, v69                                // 000000007884: 0A8A8B10
	ds_read_b64_tr_b16 a[176:177], v10 offset:4096             // 000000007888: DBC61000 B000000A
	ds_read_b64_tr_b16 a[178:179], v10 offset:4352             // 000000007890: DBC61100 B200000A
	v_mfma_f32_16x16x32_bf16 v[38:41], a[116:119], a[44:47], v[38:41]// 000000007898: D3B50026 1C9A5974
	buffer_load_dwordx4 v32, s[20:23], 0 offen offset:448 lds  // 0000000078A0: E05D11C0 80050020
	s_add_i32 m0, m0, 0x3c0                                    // 0000000078A8: 817CFF7C 000003C0
	v_mul_f32_e32 v70, v16, v70                                // 0000000078B0: 0A8C8D10
	v_mul_f32_e32 v71, v16, v71                                // 0000000078B4: 0A8E8F10
	v_mfma_f32_16x16x32_bf16 v[38:41], a[120:123], a[48:51], v[38:41]// 0000000078B8: D3B50026 1C9A6178
	v_mul_f32_e32 v72, v16, v72                                // 0000000078C0: 0A909110
	v_mul_f32_e32 v73, v16, v73                                // 0000000078C4: 0A929310
	ds_read_b64_tr_b16 a[180:181], v11 offset:4096             // 0000000078C8: DBC61000 B400000B
	ds_read_b64_tr_b16 a[182:183], v11 offset:4352             // 0000000078D0: DBC61100 B600000B
	v_mfma_f32_16x16x32_bf16 v[38:41], a[124:127], a[52:55], v[38:41]// 0000000078D8: D3B50026 1C9A697C
	v_mul_f32_e32 v74, v16, v74                                // 0000000078E0: 0A949510
	v_mul_f32_e32 v75, v16, v75                                // 0000000078E4: 0A969710
	ds_read_b64_tr_b16 a[184:185], v10 offset:5120             // 0000000078E8: DBC61400 B800000A
	ds_read_b64_tr_b16 a[186:187], v10 offset:5376             // 0000000078F0: DBC61500 BA00000A
	v_mfma_f32_16x16x32_bf16 v[38:41], a[128:131], a[56:59], v[38:41]// 0000000078F8: D3B50026 1C9A7180
	v_mul_f32_e32 v76, v16, v76                                // 000000007900: 0A989910
	v_mul_f32_e32 v77, v16, v77                                // 000000007904: 0A9A9B10
	ds_read_b64_tr_b16 a[188:189], v11 offset:5120             // 000000007908: DBC61400 BC00000B
	ds_read_b64_tr_b16 a[190:191], v11 offset:5376             // 000000007910: DBC61500 BE00000B
	v_mfma_f32_16x16x32_bf16 v[38:41], a[132:135], a[60:63], v[38:41]// 000000007918: D3B50026 1C9A7984
	buffer_load_dwordx4 v32, s[20:23], 0 offen offset:512 lds  // 000000007920: E05D1200 80050020
	s_add_i32 m0, m0, 0x3c0                                    // 000000007928: 817CFF7C 000003C0
	v_mfma_f32_16x16x32_bf16 v[38:41], a[136:139], a[64:67], v[38:41]// 000000007930: D3B50026 1C9A8188
	v_mul_f32_e32 v78, v16, v78                                // 000000007938: 0A9C9D10
	v_mul_f32_e32 v79, v16, v79                                // 00000000793C: 0A9E9F10
	ds_read_b64_tr_b16 a[192:193], v10 offset:6144             // 000000007940: DBC61800 C000000A
	ds_read_b64_tr_b16 a[194:195], v10 offset:6400             // 000000007948: DBC61900 C200000A
	ds_read_b64_tr_b16 a[196:197], v11 offset:6144             // 000000007950: DBC61800 C400000B
	ds_read_b64_tr_b16 a[198:199], v11 offset:6400             // 000000007958: DBC61900 C600000B
	ds_read_b64_tr_b16 a[200:201], v10 offset:7168             // 000000007960: DBC61C00 C800000A
	ds_read_b64_tr_b16 a[202:203], v10 offset:7424             // 000000007968: DBC61D00 CA00000A
	ds_read_b64_tr_b16 a[204:205], v11 offset:7168             // 000000007970: DBC61C00 CC00000B
	ds_read_b64_tr_b16 a[206:207], v11 offset:7424             // 000000007978: DBC61D00 CE00000B
	v_mov_b32_e32 v30, v16                                     // 000000007980: 7E3C0310
	v_mov_b32_e32 v31, v16                                     // 000000007984: 7E3E0310
	v_pk_mul_f32 v[80:81], v[30:31], v[80:81]                  // 000000007988: D3B14050 1802A11E
	v_pk_mul_f32 v[82:83], v[30:31], v[82:83]                  // 000000007990: D3B14052 1802A51E
	v_pk_mul_f32 v[84:85], v[30:31], v[84:85]                  // 000000007998: D3B14054 1802A91E
	v_pk_mul_f32 v[86:87], v[30:31], v[86:87]                  // 0000000079A0: D3B14056 1802AD1E
	v_pk_mul_f32 v[88:89], v[30:31], v[88:89]                  // 0000000079A8: D3B14058 1802B11E
	v_pk_mul_f32 v[90:91], v[30:31], v[90:91]                  // 0000000079B0: D3B1405A 1802B51E
	v_pk_mul_f32 v[92:93], v[30:31], v[92:93]                  // 0000000079B8: D3B1405C 1802B91E
	v_pk_mul_f32 v[94:95], v[30:31], v[94:95]                  // 0000000079C0: D3B1405E 1802BD1E
	v_pk_mul_f32 v[96:97], v[30:31], v[96:97]                  // 0000000079C8: D3B14060 1802C11E
	v_pk_mul_f32 v[98:99], v[30:31], v[98:99]                  // 0000000079D0: D3B14062 1802C51E
	v_pk_mul_f32 v[100:101], v[30:31], v[100:101]              // 0000000079D8: D3B14064 1802C91E
	v_pk_mul_f32 v[102:103], v[30:31], v[102:103]              // 0000000079E0: D3B14066 1802CD1E
	v_pk_mul_f32 v[104:105], v[30:31], v[104:105]              // 0000000079E8: D3B14068 1802D11E
	v_pk_mul_f32 v[106:107], v[30:31], v[106:107]              // 0000000079F0: D3B1406A 1802D51E
	v_pk_mul_f32 v[108:109], v[30:31], v[108:109]              // 0000000079F8: D3B1406C 1802D91E
	v_pk_mul_f32 v[110:111], v[30:31], v[110:111]              // 000000007A00: D3B1406E 1802DD1E
	v_pk_mul_f32 v[112:113], v[30:31], v[112:113]              // 000000007A08: D3B14070 1802E11E
	v_pk_mul_f32 v[114:115], v[30:31], v[114:115]              // 000000007A10: D3B14072 1802E51E
	v_pk_mul_f32 v[116:117], v[30:31], v[116:117]              // 000000007A18: D3B14074 1802E91E
	v_pk_mul_f32 v[118:119], v[30:31], v[118:119]              // 000000007A20: D3B14076 1802ED1E
	v_pk_mul_f32 v[120:121], v[30:31], v[120:121]              // 000000007A28: D3B14078 1802F11E
	v_pk_mul_f32 v[122:123], v[30:31], v[122:123]              // 000000007A30: D3B1407A 1802F51E
	v_pk_mul_f32 v[124:125], v[30:31], v[124:125]              // 000000007A38: D3B1407C 1802F91E
	v_pk_mul_f32 v[126:127], v[30:31], v[126:127]              // 000000007A40: D3B1407E 1802FD1E
	v_pk_mul_f32 v[128:129], v[30:31], v[128:129]              // 000000007A48: D3B14080 1803011E
	v_pk_mul_f32 v[130:131], v[30:31], v[130:131]              // 000000007A50: D3B14082 1803051E
	v_pk_mul_f32 v[132:133], v[30:31], v[132:133]              // 000000007A58: D3B14084 1803091E
	v_pk_mul_f32 v[134:135], v[30:31], v[134:135]              // 000000007A60: D3B14086 18030D1E
	v_pk_mul_f32 v[136:137], v[30:31], v[136:137]              // 000000007A68: D3B14088 1803111E
	v_pk_mul_f32 v[138:139], v[30:31], v[138:139]              // 000000007A70: D3B1408A 1803151E
	v_pk_mul_f32 v[140:141], v[30:31], v[140:141]              // 000000007A78: D3B1408C 1803191E
	v_pk_mul_f32 v[142:143], v[30:31], v[142:143]              // 000000007A80: D3B1408E 18031D1E
	v_pk_mul_f32 v[144:145], v[30:31], v[144:145]              // 000000007A88: D3B14090 1803211E
	v_pk_mul_f32 v[146:147], v[30:31], v[146:147]              // 000000007A90: D3B14092 1803251E
	v_pk_mul_f32 v[148:149], v[30:31], v[148:149]              // 000000007A98: D3B14094 1803291E
	v_pk_mul_f32 v[150:151], v[30:31], v[150:151]              // 000000007AA0: D3B14096 18032D1E
	v_pk_mul_f32 v[152:153], v[30:31], v[152:153]              // 000000007AA8: D3B14098 1803311E
	v_pk_mul_f32 v[154:155], v[30:31], v[154:155]              // 000000007AB0: D3B1409A 1803351E
	v_pk_mul_f32 v[156:157], v[30:31], v[156:157]              // 000000007AB8: D3B1409C 1803391E
	v_pk_mul_f32 v[158:159], v[30:31], v[158:159]              // 000000007AC0: D3B1409E 18033D1E
	v_pk_mul_f32 v[160:161], v[30:31], v[160:161]              // 000000007AC8: D3B140A0 1803411E
	v_pk_mul_f32 v[162:163], v[30:31], v[162:163]              // 000000007AD0: D3B140A2 1803451E
	v_pk_mul_f32 v[164:165], v[30:31], v[164:165]              // 000000007AD8: D3B140A4 1803491E
	v_pk_mul_f32 v[166:167], v[30:31], v[166:167]              // 000000007AE0: D3B140A6 18034D1E
	v_pk_mul_f32 v[168:169], v[30:31], v[168:169]              // 000000007AE8: D3B140A8 1803511E
	v_pk_mul_f32 v[170:171], v[30:31], v[170:171]              // 000000007AF0: D3B140AA 1803551E
	v_pk_mul_f32 v[172:173], v[30:31], v[172:173]              // 000000007AF8: D3B140AC 1803591E
	v_pk_mul_f32 v[174:175], v[30:31], v[174:175]              // 000000007B00: D3B140AE 18035D1E
	v_pk_mul_f32 v[176:177], v[30:31], v[176:177]              // 000000007B08: D3B140B0 1803611E
	v_mfma_f32_16x16x32_bf16 v[38:41], a[140:143], a[68:71], v[38:41]// 000000007B10: D3B50026 1C9A898C
	s_addk_i32 s70, 0x1                                        // 000000007B18: B7460001
	s_cmp_lt_i32 s70, s71                                      // 000000007B1C: BF044746
	s_cbranch_scc0 label_39C8                                  // 000000007B20: BF84F8E9
	s_waitcnt lgkmcnt(0)                                       // 000000007B24: BF8CC07F
	v_mul_u32_u24_e64 v32, v25, s68                            // 000000007B28: D1080020 00008919
	v_add_u32_e32 v32, v32, v1                                 // 000000007B30: 68400320
	v_mfma_f32_16x16x32_bf16 v[50:53], a[144:147], v[42:45], v[50:53]// 000000007B34: D3B50032 0CCA5590
	v_mov_b32_e32 v29, v34                                     // 000000007B3C: 7E3A0322
	v_max3_f32 v29, v34, v35, v29                              // 000000007B40: D1D3001D 04764722
	v_mfma_f32_16x16x32_bf16 v[54:57], a[148:151], v[42:45], v[54:57]// 000000007B48: D3B50036 0CDA5594
	ds_read_b64_tr_b16 a[144:145], v10 offset:8192             // 000000007B50: DBC62000 9000000A
	ds_read_b64_tr_b16 a[146:147], v10 offset:8448             // 000000007B58: DBC62100 9200000A
	v_mfma_f32_16x16x32_bf16 v[58:61], a[152:155], v[42:45], v[58:61]// 000000007B60: D3B5003A 0CEA5598
	v_max3_f32 v29, v36, v37, v29                              // 000000007B68: D1D3001D 04764B24
	v_max3_f32 v29, v38, v39, v29                              // 000000007B70: D1D3001D 04764F26
	v_mfma_f32_16x16x32_bf16 v[62:65], a[156:159], v[42:45], v[62:65]// 000000007B78: D3B5003E 0CFA559C
	ds_read_b64_tr_b16 a[148:149], v11 offset:8192             // 000000007B80: DBC62000 9400000B
	ds_read_b64_tr_b16 a[150:151], v11 offset:8448             // 000000007B88: DBC62100 9600000B
	v_mfma_f32_16x16x32_bf16 v[66:69], a[160:163], v[42:45], v[66:69]// 000000007B90: D3B50042 0D0A55A0
	v_max3_f32 v29, v40, v41, v29                              // 000000007B98: D1D3001D 04765328
	v_mov_b32_e32 v28, v29                                     // 000000007BA0: 7E38031D
	v_mfma_f32_16x16x32_bf16 v[70:73], a[164:167], v[42:45], v[70:73]// 000000007BA4: D3B50046 0D1A55A4
	ds_read_b64_tr_b16 a[152:153], v10 offset:9216             // 000000007BAC: DBC62400 9800000A
	ds_read_b64_tr_b16 a[154:155], v10 offset:9472             // 000000007BB4: DBC62500 9A00000A
	v_mfma_f32_16x16x32_bf16 v[74:77], a[168:171], v[42:45], v[74:77]// 000000007BBC: D3B5004A 0D2A55A8
	v_mov_b32_e32 v29, v29                                     // 000000007BC4: 7E3A031D
	s_nop 1                                                    // 000000007BC8: BF800001
	v_mfma_f32_16x16x32_bf16 v[78:81], a[172:175], v[42:45], v[78:81]// 000000007BCC: D3B5004E 0D3A55AC
	ds_read_b64_tr_b16 a[156:157], v11 offset:9216             // 000000007BD4: DBC62400 9C00000B
	ds_read_b64_tr_b16 a[158:159], v11 offset:9472             // 000000007BDC: DBC62500 9E00000B
	v_mfma_f32_16x16x32_bf16 v[82:85], a[176:179], v[42:45], v[82:85]// 000000007BE4: D3B50052 0D4A55B0
	v_permlane16_swap_b32_e32 v28, v29                         // 000000007BEC: 7E38B31D
	v_mfma_f32_16x16x32_bf16 v[86:89], a[180:183], v[42:45], v[86:89]// 000000007BF0: D3B50056 0D5A55B4
	ds_read_b64_tr_b16 a[160:161], v10 offset:10240            // 000000007BF8: DBC62800 A000000A
	ds_read_b64_tr_b16 a[162:163], v10 offset:10496            // 000000007C00: DBC62900 A200000A
	v_mfma_f32_16x16x32_bf16 v[90:93], a[184:187], v[42:45], v[90:93]// 000000007C08: D3B5005A 0D6A55B8
	v_mov_b32_e32 v31, v28                                     // 000000007C10: 7E3E031C
	v_mov_b32_e32 v30, v29                                     // 000000007C14: 7E3C031D
	v_mfma_f32_16x16x32_bf16 v[94:97], a[188:191], v[42:45], v[94:97]// 000000007C18: D3B5005E 0D7A55BC
	ds_read_b64_tr_b16 a[164:165], v11 offset:10240            // 000000007C20: DBC62800 A400000B
	ds_read_b64_tr_b16 a[166:167], v11 offset:10496            // 000000007C28: DBC62900 A600000B
	v_mfma_f32_16x16x32_bf16 v[98:101], a[192:195], v[42:45], v[98:101]// 000000007C30: D3B50062 0D8A55C0
	s_nop 1                                                    // 000000007C38: BF800001
	v_permlane32_swap_b32_e32 v28, v29                         // 000000007C3C: 7E38B51D
	v_mfma_f32_16x16x32_bf16 v[102:105], a[196:199], v[42:45], v[102:105]// 000000007C40: D3B50066 0D9A55C4
	ds_read_b64_tr_b16 a[168:169], v10 offset:11264            // 000000007C48: DBC62C00 A800000A
	ds_read_b64_tr_b16 a[170:171], v10 offset:11520            // 000000007C50: DBC62D00 AA00000A
	v_mfma_f32_16x16x32_bf16 v[106:109], a[200:203], v[42:45], v[106:109]// 000000007C58: D3B5006A 0DAA55C8
	v_permlane32_swap_b32_e32 v30, v31                         // 000000007C60: 7E3CB51F
	v_mfma_f32_16x16x32_bf16 v[110:113], a[204:207], v[42:45], v[110:113]// 000000007C64: D3B5006E 0DBA55CC
	ds_read_b64_tr_b16 a[172:173], v11 offset:11264            // 000000007C6C: DBC62C00 AC00000B
	ds_read_b64_tr_b16 a[174:175], v11 offset:11520            // 000000007C74: DBC62D00 AE00000B
	ds_read_b64_tr_b16 a[176:177], v10 offset:12288            // 000000007C7C: DBC63000 B000000A
	ds_read_b64_tr_b16 a[178:179], v10 offset:12544            // 000000007C84: DBC63100 B200000A
	ds_read_b64_tr_b16 a[180:181], v11 offset:12288            // 000000007C8C: DBC63000 B400000B
	ds_read_b64_tr_b16 a[182:183], v11 offset:12544            // 000000007C94: DBC63100 B600000B
	ds_read_b64_tr_b16 a[184:185], v10 offset:13312            // 000000007C9C: DBC63400 B800000A
	ds_read_b64_tr_b16 a[186:187], v10 offset:13568            // 000000007CA4: DBC63500 BA00000A
	ds_read_b64_tr_b16 a[188:189], v11 offset:13312            // 000000007CAC: DBC63400 BC00000B
	ds_read_b64_tr_b16 a[190:191], v11 offset:13568            // 000000007CB4: DBC63500 BE00000B
	s_waitcnt lgkmcnt(0)                                       // 000000007CBC: BF8CC07F
	v_mfma_f32_16x16x32_bf16 v[114:117], a[144:147], v[42:45], v[114:117]// 000000007CC0: D3B50072 0DCA5590
	ds_read_b64_tr_b16 a[192:193], v10 offset:14336            // 000000007CC8: DBC63800 C000000A
	ds_read_b64_tr_b16 a[194:195], v10 offset:14592            // 000000007CD0: DBC63900 C200000A
	v_mfma_f32_16x16x32_bf16 v[118:121], a[148:151], v[42:45], v[118:121]// 000000007CD8: D3B50076 0DDA5594
	s_waitcnt vmcnt(10)                                        // 000000007CE0: BF8C0F7A
	s_barrier                                                  // 000000007CE4: BF8A0000
	ds_read_b128 a[72:75], v21                                 // 000000007CE8: DBFE0000 48000015
	ds_read_b128 a[76:79], v21 offset:1024                     // 000000007CF0: DBFE0400 4C000015
	v_mfma_f32_16x16x32_bf16 v[122:125], a[152:155], v[42:45], v[122:125]// 000000007CF8: D3B5007A 0DEA5598
	ds_read_b64_tr_b16 a[196:197], v11 offset:14336            // 000000007D00: DBC63800 C400000B
	ds_read_b64_tr_b16 a[198:199], v11 offset:14592            // 000000007D08: DBC63900 C600000B
	v_mfma_f32_16x16x32_bf16 v[126:129], a[156:159], v[42:45], v[126:129]// 000000007D10: D3B5007E 0DFA559C
	ds_read_b128 a[80:83], v21 offset:2048                     // 000000007D18: DBFE0800 50000015
	ds_read_b128 a[84:87], v21 offset:3072                     // 000000007D20: DBFE0C00 54000015
	v_mfma_f32_16x16x32_bf16 v[130:133], a[160:163], v[42:45], v[130:133]// 000000007D28: D3B50082 0E0A55A0
	ds_read_b64_tr_b16 a[200:201], v10 offset:15360            // 000000007D30: DBC63C00 C800000A
	ds_read_b64_tr_b16 a[202:203], v10 offset:15616            // 000000007D38: DBC63D00 CA00000A
	v_mfma_f32_16x16x32_bf16 v[134:137], a[164:167], v[42:45], v[134:137]// 000000007D40: D3B50086 0E1A55A4
	ds_read_b128 a[88:91], v21 offset:4096                     // 000000007D48: DBFE1000 58000015
	ds_read_b128 a[92:95], v21 offset:5120                     // 000000007D50: DBFE1400 5C000015
	v_mfma_f32_16x16x32_bf16 v[138:141], a[168:171], v[42:45], v[138:141]// 000000007D58: D3B5008A 0E2A55A8
	ds_read_b64_tr_b16 a[204:205], v11 offset:15360            // 000000007D60: DBC63C00 CC00000B
	ds_read_b64_tr_b16 a[206:207], v11 offset:15616            // 000000007D68: DBC63D00 CE00000B
	v_mfma_f32_16x16x32_bf16 v[142:145], a[172:175], v[42:45], v[142:145]// 000000007D70: D3B5008E 0E3A55AC
	ds_read_b128 a[96:99], v21 offset:6144                     // 000000007D78: DBFE1800 60000015
	ds_read_b128 a[100:103], v21 offset:7168                   // 000000007D80: DBFE1C00 64000015
	v_mfma_f32_16x16x32_bf16 v[146:149], a[176:179], v[42:45], v[146:149]// 000000007D88: D3B50092 0E4A55B0
	v_max3_f32 v29, v28, v29, v29                              // 000000007D90: D1D3001D 04763B1C
	v_max3_f32 v29, v30, v31, v29                              // 000000007D98: D1D3001D 04763F1E
	v_mfma_f32_16x16x32_bf16 v[150:153], a[180:183], v[42:45], v[150:153]// 000000007DA0: D3B50096 0E5A55B4
	ds_read_b128 a[104:107], v21 offset:8192                   // 000000007DA8: DBFE2000 68000015
	ds_read_b128 a[108:111], v21 offset:9216                   // 000000007DB0: DBFE2400 6C000015
	v_mfma_f32_16x16x32_bf16 v[154:157], a[184:187], v[42:45], v[154:157]// 000000007DB8: D3B5009A 0E6A55B8
	v_mov_b32_e32 v28, 0xff800000                              // 000000007DC0: 7E3802FF FF800000
	v_cmp_eq_u32_e64 s[36:37], v28, v2                         // 000000007DC8: D0CA0024 0002051C
	v_mfma_f32_16x16x32_bf16 v[158:161], a[188:191], v[42:45], v[158:161]// 000000007DD0: D3B5009E 0E7A55BC
	ds_read_b128 a[112:115], v21 offset:10240                  // 000000007DD8: DBFE2800 70000015
	ds_read_b128 a[116:119], v21 offset:11264                  // 000000007DE0: DBFE2C00 74000015
	v_mfma_f32_16x16x32_bf16 v[162:165], a[192:195], v[42:45], v[162:165]// 000000007DE8: D3B500A2 0E8A55C0
	v_max_f32_e32 v29, v29, v2                                 // 000000007DF0: 163A051D
	v_sub_f32_e32 v16, v2, v29                                 // 000000007DF4: 04203B02
	v_mfma_f32_16x16x32_bf16 v[166:169], a[196:199], v[42:45], v[166:169]// 000000007DF8: D3B500A6 0E9A55C4
	ds_read_b128 a[120:123], v21 offset:12288                  // 000000007E00: DBFE3000 78000015
	ds_read_b128 a[124:127], v21 offset:13312                  // 000000007E08: DBFE3400 7C000015
	v_mfma_f32_16x16x32_bf16 v[170:173], a[200:203], v[42:45], v[170:173]// 000000007E10: D3B500AA 0EAA55C8
	v_cndmask_b32_e64 v16, v16, 0, s[36:37]                    // 000000007E18: D1000010 00910110
	v_mov_b32_e32 v2, v29                                      // 000000007E20: 7E04031D
	v_mfma_f32_16x16x32_bf16 v[174:177], a[204:207], v[42:45], v[174:177]// 000000007E24: D3B500AE 0EBA55CC
	ds_read_b128 a[128:131], v21 offset:14336                  // 000000007E2C: DBFE3800 80000015
	ds_read_b128 a[132:135], v21 offset:15360                  // 000000007E34: DBFE3C00 84000015
	ds_read_b128 a[136:139], v21 offset:16384                  // 000000007E3C: DBFE4000 88000015
	ds_read_b128 a[140:143], v21 offset:17408                  // 000000007E44: DBFE4400 8C000015
	s_waitcnt lgkmcnt(0)                                       // 000000007E4C: BF8CC07F
	v_mfma_f32_16x16x32_bf16 v[42:45], a[72:75], a[0:3], 0     // 000000007E50: D3B5002A 1A020148
	buffer_load_dword v23, v26, s[24:27], 0 offen              // 000000007E58: E0501000 8006171A
	v_mul_f32_e32 v29, s5, v29                                 // 000000007E60: 0A3A3A05
	s_mov_b32 s56, 0xb000                                      // 000000007E64: BEB800FF 0000B000
	s_mul_i32 s57, s7, 0x2400                                  // 000000007E6C: 9239FF07 00002400
	s_add_u32 m0, s56, s57                                     // 000000007E74: 807C3938
	buffer_load_dwordx4 v32, s[20:23], 0 offen lds             // 000000007E78: E05D1000 80050020
	s_add_i32 m0, m0, 0x3c0                                    // 000000007E80: 817CFF7C 000003C0
	v_mfma_f32_16x16x32_bf16 v[42:45], a[76:79], a[4:7], v[42:45]// 000000007E88: D3B5002A 1CAA094C
	buffer_load_dwordx4 v32, s[20:23], 0 offen offset:64 lds   // 000000007E90: E05D1040 80050020
	s_add_i32 m0, m0, 0x3c0                                    // 000000007E98: 817CFF7C 000003C0
	v_mfma_f32_16x16x32_bf16 v[42:45], a[80:83], a[8:11], v[42:45]// 000000007EA0: D3B5002A 1CAA1150
	v_mul_f32_e32 v16, s5, v16                                 // 000000007EA8: 0A202005
	v_exp_f32_e32 v16, v16                                     // 000000007EAC: 7E204110
	v_mfma_f32_16x16x32_bf16 v[42:45], a[84:87], a[12:15], v[42:45]// 000000007EB0: D3B5002A 1CAA1954
	v_add_u32_e32 v26, s73, v26                                // 000000007EB8: 68343449
	ds_read_b128 a[72:75], v21 offset:18432                    // 000000007EBC: DBFE4800 48000015
	ds_read_b128 a[76:79], v21 offset:19456                    // 000000007EC4: DBFE4C00 4C000015
	v_fma_f32 v34, v34, s5, -v29                               // 000000007ECC: D1CB0022 84740B22
	v_mfma_f32_16x16x32_bf16 v[42:45], a[88:91], a[16:19], v[42:45]// 000000007ED4: D3B5002A 1CAA2158
	ds_read_b128 a[80:83], v21 offset:20480                    // 000000007EDC: DBFE5000 50000015
	ds_read_b128 a[84:87], v21 offset:21504                    // 000000007EE4: DBFE5400 54000015
	v_fma_f32 v35, v35, s5, -v29                               // 000000007EEC: D1CB0023 84740B23
	v_mfma_f32_16x16x32_bf16 v[42:45], a[92:95], a[20:23], v[42:45]// 000000007EF4: D3B5002A 1CAA295C
	buffer_load_dwordx4 v32, s[20:23], 0 offen offset:128 lds  // 000000007EFC: E05D1080 80050020
	s_add_i32 m0, m0, 0x3c0                                    // 000000007F04: 817CFF7C 000003C0
	v_mfma_f32_16x16x32_bf16 v[42:45], a[96:99], a[24:27], v[42:45]// 000000007F0C: D3B5002A 1CAA3160
	v_fma_f32 v36, v36, s5, -v29                               // 000000007F14: D1CB0024 84740B24
	v_fma_f32 v37, v37, s5, -v29                               // 000000007F1C: D1CB0025 84740B25
	v_mfma_f32_16x16x32_bf16 v[42:45], a[100:103], a[28:31], v[42:45]// 000000007F24: D3B5002A 1CAA3964
	ds_read_b128 a[88:91], v21 offset:22528                    // 000000007F2C: DBFE5800 58000015
	ds_read_b128 a[92:95], v21 offset:23552                    // 000000007F34: DBFE5C00 5C000015
	v_fma_f32 v38, v38, s5, -v29                               // 000000007F3C: D1CB0026 84740B26
	v_mfma_f32_16x16x32_bf16 v[42:45], a[104:107], a[32:35], v[42:45]// 000000007F44: D3B5002A 1CAA4168
	ds_read_b128 a[96:99], v21 offset:24576                    // 000000007F4C: DBFE6000 60000015
	ds_read_b128 a[100:103], v21 offset:25600                  // 000000007F54: DBFE6400 64000015
	v_fma_f32 v39, v39, s5, -v29                               // 000000007F5C: D1CB0027 84740B27
	v_mfma_f32_16x16x32_bf16 v[42:45], a[108:111], a[36:39], v[42:45]// 000000007F64: D3B5002A 1CAA496C
	buffer_load_dwordx4 v32, s[20:23], 0 offen offset:192 lds  // 000000007F6C: E05D10C0 80050020
	s_add_i32 m0, m0, 0x3c0                                    // 000000007F74: 817CFF7C 000003C0
	v_mfma_f32_16x16x32_bf16 v[42:45], a[112:115], a[40:43], v[42:45]// 000000007F7C: D3B5002A 1CAA5170
	v_fma_f32 v40, v40, s5, -v29                               // 000000007F84: D1CB0028 84740B28
	v_fma_f32 v41, v41, s5, -v29                               // 000000007F8C: D1CB0029 84740B29
	v_mfma_f32_16x16x32_bf16 v[42:45], a[116:119], a[44:47], v[42:45]// 000000007F94: D3B5002A 1CAA5974
	v_exp_f32_e32 v34, v34                                     // 000000007F9C: 7E444122
	v_mfma_f32_16x16x32_bf16 v[42:45], a[120:123], a[48:51], v[42:45]// 000000007FA0: D3B5002A 1CAA6178
	ds_read_b128 a[104:107], v21 offset:26624                  // 000000007FA8: DBFE6800 68000015
	ds_read_b128 a[108:111], v21 offset:27648                  // 000000007FB0: DBFE6C00 6C000015
	v_exp_f32_e32 v35, v35                                     // 000000007FB8: 7E464123
	v_mfma_f32_16x16x32_bf16 v[42:45], a[124:127], a[52:55], v[42:45]// 000000007FBC: D3B5002A 1CAA697C
	buffer_load_dwordx4 v32, s[20:23], 0 offen offset:256 lds  // 000000007FC4: E05D1100 80050020
	s_add_i32 m0, m0, 0x3c0                                    // 000000007FCC: 817CFF7C 000003C0
	v_mfma_f32_16x16x32_bf16 v[42:45], a[128:131], a[56:59], v[42:45]// 000000007FD4: D3B5002A 1CAA7180
	v_exp_f32_e32 v36, v36                                     // 000000007FDC: 7E484124
	v_mfma_f32_16x16x32_bf16 v[42:45], a[132:135], a[60:63], v[42:45]// 000000007FE0: D3B5002A 1CAA7984
	ds_read_b128 a[112:115], v21 offset:28672                  // 000000007FE8: DBFE7000 70000015
	ds_read_b128 a[116:119], v21 offset:29696                  // 000000007FF0: DBFE7400 74000015
	v_exp_f32_e32 v37, v37                                     // 000000007FF8: 7E4A4125
	v_mfma_f32_16x16x32_bf16 v[42:45], a[136:139], a[64:67], v[42:45]// 000000007FFC: D3B5002A 1CAA8188
	ds_read_b128 a[120:123], v21 offset:30720                  // 000000008004: DBFE7800 78000015
	ds_read_b128 a[124:127], v21 offset:31744                  // 00000000800C: DBFE7C00 7C000015
	v_exp_f32_e32 v38, v38                                     // 000000008014: 7E4C4126
	v_mfma_f32_16x16x32_bf16 v[42:45], a[140:143], a[68:71], v[42:45]// 000000008018: D3B5002A 1CAA898C
	ds_read_b128 a[128:131], v21 offset:32768                  // 000000008020: DBFE8000 80000015
	ds_read_b128 a[132:135], v21 offset:33792                  // 000000008028: DBFE8400 84000015
	v_exp_f32_e32 v39, v39                                     // 000000008030: 7E4E4127
	ds_read_b128 a[136:139], v21 offset:34816                  // 000000008034: DBFE8800 88000015
	ds_read_b128 a[140:143], v21 offset:35840                  // 00000000803C: DBFE8C00 8C000015
	v_exp_f32_e32 v40, v40                                     // 000000008044: 7E504128
	v_exp_f32_e32 v41, v41                                     // 000000008048: 7E524129
	v_mul_f32_e32 v4, v16, v4                                  // 00000000804C: 0A080910
	v_mov_b32_e32 v28, v34                                     // 000000008050: 7E380322
	v_add_f32_e32 v28, v35, v28                                // 000000008054: 02383923
	v_add_f32_e32 v28, v36, v28                                // 000000008058: 02383924
	v_add_f32_e32 v28, v37, v28                                // 00000000805C: 02383925
	v_add_f32_e32 v28, v38, v28                                // 000000008060: 02383926
	v_add_f32_e32 v28, v39, v28                                // 000000008064: 02383927
	;; [unrolled: 1-line block ×3, first 2 shown]
	v_add_f32_e32 v28, v41, v28                                // 00000000806C: 02383929
	v_add_f32_e32 v4, v28, v4                                  // 000000008070: 0208091C
	v_cvt_pk_bf16_f32 v34, v34, v35                            // 000000008074: D2680022 00024722
	v_cvt_pk_bf16_f32 v35, v36, v37                            // 00000000807C: D2680023 00024B24
	v_cvt_pk_bf16_f32 v36, v38, v39                            // 000000008084: D2680024 00024F26
	v_cvt_pk_bf16_f32 v37, v40, v41                            // 00000000808C: D2680025 00025328
	s_nop 0                                                    // 000000008094: BF800000
	v_permlane32_swap_b32_e32 v34, v36                         // 000000008098: 7E44B524
	v_permlane32_swap_b32_e32 v35, v37                         // 00000000809C: 7E46B525
	s_nop 0                                                    // 0000000080A0: BF800000
	v_permlane16_swap_b32_e32 v34, v36                         // 0000000080A4: 7E44B324
	v_permlane16_swap_b32_e32 v35, v37                         // 0000000080A8: 7E46B325
	s_waitcnt lgkmcnt(0)                                       // 0000000080AC: BF8CC07F
	v_mfma_f32_16x16x32_bf16 v[46:49], a[72:75], a[0:3], 0     // 0000000080B0: D3B5002E 1A020148
	v_mul_f32_e32 v50, v16, v50                                // 0000000080B8: 0A646510
	v_mul_f32_e32 v51, v16, v51                                // 0000000080BC: 0A666710
	ds_read_b64_tr_b16 a[144:145], v12                         // 0000000080C0: DBC60000 9000000C
	ds_read_b64_tr_b16 a[146:147], v12 offset:256              // 0000000080C8: DBC60100 9200000C
	v_mfma_f32_16x16x32_bf16 v[46:49], a[76:79], a[4:7], v[46:49]// 0000000080D0: D3B5002E 1CBA094C
	buffer_load_dwordx4 v32, s[20:23], 0 offen offset:320 lds  // 0000000080D8: E05D1140 80050020
	s_add_i32 m0, m0, 0x3c0                                    // 0000000080E0: 817CFF7C 000003C0
	v_mul_f32_e32 v52, v16, v52                                // 0000000080E8: 0A686910
	v_mul_f32_e32 v53, v16, v53                                // 0000000080EC: 0A6A6B10
	v_mfma_f32_16x16x32_bf16 v[46:49], a[80:83], a[8:11], v[46:49]// 0000000080F0: D3B5002E 1CBA1150
	v_mul_f32_e32 v54, v16, v54                                // 0000000080F8: 0A6C6D10
	v_mul_f32_e32 v55, v16, v55                                // 0000000080FC: 0A6E6F10
	ds_read_b64_tr_b16 a[148:149], v13                         // 000000008100: DBC60000 9400000D
	ds_read_b64_tr_b16 a[150:151], v13 offset:256              // 000000008108: DBC60100 9600000D
	v_mfma_f32_16x16x32_bf16 v[46:49], a[84:87], a[12:15], v[46:49]// 000000008110: D3B5002E 1CBA1954
	v_mul_f32_e32 v56, v16, v56                                // 000000008118: 0A707110
	v_mul_f32_e32 v57, v16, v57                                // 00000000811C: 0A727310
	ds_read_b64_tr_b16 a[152:153], v12 offset:1024             // 000000008120: DBC60400 9800000C
	ds_read_b64_tr_b16 a[154:155], v12 offset:1280             // 000000008128: DBC60500 9A00000C
	v_mfma_f32_16x16x32_bf16 v[46:49], a[88:91], a[16:19], v[46:49]// 000000008130: D3B5002E 1CBA2158
	v_mul_f32_e32 v58, v16, v58                                // 000000008138: 0A747510
	v_mul_f32_e32 v59, v16, v59                                // 00000000813C: 0A767710
	ds_read_b64_tr_b16 a[156:157], v13 offset:1024             // 000000008140: DBC60400 9C00000D
	ds_read_b64_tr_b16 a[158:159], v13 offset:1280             // 000000008148: DBC60500 9E00000D
	v_mfma_f32_16x16x32_bf16 v[46:49], a[92:95], a[20:23], v[46:49]// 000000008150: D3B5002E 1CBA295C
	v_mul_f32_e32 v60, v16, v60                                // 000000008158: 0A787910
	v_mul_f32_e32 v61, v16, v61                                // 00000000815C: 0A7A7B10
	ds_read_b64_tr_b16 a[160:161], v12 offset:2048             // 000000008160: DBC60800 A000000C
	ds_read_b64_tr_b16 a[162:163], v12 offset:2304             // 000000008168: DBC60900 A200000C
	v_mfma_f32_16x16x32_bf16 v[46:49], a[96:99], a[24:27], v[46:49]// 000000008170: D3B5002E 1CBA3160
	v_mul_f32_e32 v62, v16, v62                                // 000000008178: 0A7C7D10
	v_mul_f32_e32 v63, v16, v63                                // 00000000817C: 0A7E7F10
	ds_read_b64_tr_b16 a[164:165], v13 offset:2048             // 000000008180: DBC60800 A400000D
	ds_read_b64_tr_b16 a[166:167], v13 offset:2304             // 000000008188: DBC60900 A600000D
	v_mfma_f32_16x16x32_bf16 v[46:49], a[100:103], a[28:31], v[46:49]// 000000008190: D3B5002E 1CBA3964
	buffer_load_dwordx4 v32, s[20:23], 0 offen offset:384 lds  // 000000008198: E05D1180 80050020
	s_add_i32 m0, m0, 0x3c0                                    // 0000000081A0: 817CFF7C 000003C0
	v_mfma_f32_16x16x32_bf16 v[46:49], a[104:107], a[32:35], v[46:49]// 0000000081A8: D3B5002E 1CBA4168
	v_mul_f32_e32 v64, v16, v64                                // 0000000081B0: 0A808110
	v_mul_f32_e32 v65, v16, v65                                // 0000000081B4: 0A828310
	ds_read_b64_tr_b16 a[168:169], v12 offset:3072             // 0000000081B8: DBC60C00 A800000C
	ds_read_b64_tr_b16 a[170:171], v12 offset:3328             // 0000000081C0: DBC60D00 AA00000C
	v_mfma_f32_16x16x32_bf16 v[46:49], a[108:111], a[36:39], v[46:49]// 0000000081C8: D3B5002E 1CBA496C
	v_mul_f32_e32 v66, v16, v66                                // 0000000081D0: 0A848510
	v_mul_f32_e32 v67, v16, v67                                // 0000000081D4: 0A868710
	ds_read_b64_tr_b16 a[172:173], v13 offset:3072             // 0000000081D8: DBC60C00 AC00000D
	ds_read_b64_tr_b16 a[174:175], v13 offset:3328             // 0000000081E0: DBC60D00 AE00000D
	v_mfma_f32_16x16x32_bf16 v[46:49], a[112:115], a[40:43], v[46:49]// 0000000081E8: D3B5002E 1CBA5170
	v_mul_f32_e32 v68, v16, v68                                // 0000000081F0: 0A888910
	v_mul_f32_e32 v69, v16, v69                                // 0000000081F4: 0A8A8B10
	ds_read_b64_tr_b16 a[176:177], v12 offset:4096             // 0000000081F8: DBC61000 B000000C
	ds_read_b64_tr_b16 a[178:179], v12 offset:4352             // 000000008200: DBC61100 B200000C
	v_mfma_f32_16x16x32_bf16 v[46:49], a[116:119], a[44:47], v[46:49]// 000000008208: D3B5002E 1CBA5974
	buffer_load_dwordx4 v32, s[20:23], 0 offen offset:448 lds  // 000000008210: E05D11C0 80050020
	s_add_i32 m0, m0, 0x3c0                                    // 000000008218: 817CFF7C 000003C0
	v_mul_f32_e32 v70, v16, v70                                // 000000008220: 0A8C8D10
	v_mul_f32_e32 v71, v16, v71                                // 000000008224: 0A8E8F10
	v_mfma_f32_16x16x32_bf16 v[46:49], a[120:123], a[48:51], v[46:49]// 000000008228: D3B5002E 1CBA6178
	v_mul_f32_e32 v72, v16, v72                                // 000000008230: 0A909110
	v_mul_f32_e32 v73, v16, v73                                // 000000008234: 0A929310
	ds_read_b64_tr_b16 a[180:181], v13 offset:4096             // 000000008238: DBC61000 B400000D
	ds_read_b64_tr_b16 a[182:183], v13 offset:4352             // 000000008240: DBC61100 B600000D
	v_mfma_f32_16x16x32_bf16 v[46:49], a[124:127], a[52:55], v[46:49]// 000000008248: D3B5002E 1CBA697C
	v_mul_f32_e32 v74, v16, v74                                // 000000008250: 0A949510
	v_mul_f32_e32 v75, v16, v75                                // 000000008254: 0A969710
	ds_read_b64_tr_b16 a[184:185], v12 offset:5120             // 000000008258: DBC61400 B800000C
	ds_read_b64_tr_b16 a[186:187], v12 offset:5376             // 000000008260: DBC61500 BA00000C
	v_mfma_f32_16x16x32_bf16 v[46:49], a[128:131], a[56:59], v[46:49]// 000000008268: D3B5002E 1CBA7180
	v_mul_f32_e32 v76, v16, v76                                // 000000008270: 0A989910
	v_mul_f32_e32 v77, v16, v77                                // 000000008274: 0A9A9B10
	ds_read_b64_tr_b16 a[188:189], v13 offset:5120             // 000000008278: DBC61400 BC00000D
	ds_read_b64_tr_b16 a[190:191], v13 offset:5376             // 000000008280: DBC61500 BE00000D
	v_mfma_f32_16x16x32_bf16 v[46:49], a[132:135], a[60:63], v[46:49]// 000000008288: D3B5002E 1CBA7984
	buffer_load_dwordx4 v32, s[20:23], 0 offen offset:512 lds  // 000000008290: E05D1200 80050020
	s_add_i32 m0, m0, 0x3c0                                    // 000000008298: 817CFF7C 000003C0
	v_mfma_f32_16x16x32_bf16 v[46:49], a[136:139], a[64:67], v[46:49]// 0000000082A0: D3B5002E 1CBA8188
	v_mul_f32_e32 v78, v16, v78                                // 0000000082A8: 0A9C9D10
	v_mul_f32_e32 v79, v16, v79                                // 0000000082AC: 0A9E9F10
	ds_read_b64_tr_b16 a[192:193], v12 offset:6144             // 0000000082B0: DBC61800 C000000C
	ds_read_b64_tr_b16 a[194:195], v12 offset:6400             // 0000000082B8: DBC61900 C200000C
	ds_read_b64_tr_b16 a[196:197], v13 offset:6144             // 0000000082C0: DBC61800 C400000D
	ds_read_b64_tr_b16 a[198:199], v13 offset:6400             // 0000000082C8: DBC61900 C600000D
	ds_read_b64_tr_b16 a[200:201], v12 offset:7168             // 0000000082D0: DBC61C00 C800000C
	ds_read_b64_tr_b16 a[202:203], v12 offset:7424             // 0000000082D8: DBC61D00 CA00000C
	ds_read_b64_tr_b16 a[204:205], v13 offset:7168             // 0000000082E0: DBC61C00 CC00000D
	ds_read_b64_tr_b16 a[206:207], v13 offset:7424             // 0000000082E8: DBC61D00 CE00000D
	v_mov_b32_e32 v30, v16                                     // 0000000082F0: 7E3C0310
	v_mov_b32_e32 v31, v16                                     // 0000000082F4: 7E3E0310
	v_pk_mul_f32 v[80:81], v[30:31], v[80:81]                  // 0000000082F8: D3B14050 1802A11E
	v_pk_mul_f32 v[82:83], v[30:31], v[82:83]                  // 000000008300: D3B14052 1802A51E
	v_pk_mul_f32 v[84:85], v[30:31], v[84:85]                  // 000000008308: D3B14054 1802A91E
	v_pk_mul_f32 v[86:87], v[30:31], v[86:87]                  // 000000008310: D3B14056 1802AD1E
	v_pk_mul_f32 v[88:89], v[30:31], v[88:89]                  // 000000008318: D3B14058 1802B11E
	v_pk_mul_f32 v[90:91], v[30:31], v[90:91]                  // 000000008320: D3B1405A 1802B51E
	v_pk_mul_f32 v[92:93], v[30:31], v[92:93]                  // 000000008328: D3B1405C 1802B91E
	v_pk_mul_f32 v[94:95], v[30:31], v[94:95]                  // 000000008330: D3B1405E 1802BD1E
	v_pk_mul_f32 v[96:97], v[30:31], v[96:97]                  // 000000008338: D3B14060 1802C11E
	v_pk_mul_f32 v[98:99], v[30:31], v[98:99]                  // 000000008340: D3B14062 1802C51E
	v_pk_mul_f32 v[100:101], v[30:31], v[100:101]              // 000000008348: D3B14064 1802C91E
	v_pk_mul_f32 v[102:103], v[30:31], v[102:103]              // 000000008350: D3B14066 1802CD1E
	v_pk_mul_f32 v[104:105], v[30:31], v[104:105]              // 000000008358: D3B14068 1802D11E
	v_pk_mul_f32 v[106:107], v[30:31], v[106:107]              // 000000008360: D3B1406A 1802D51E
	v_pk_mul_f32 v[108:109], v[30:31], v[108:109]              // 000000008368: D3B1406C 1802D91E
	v_pk_mul_f32 v[110:111], v[30:31], v[110:111]              // 000000008370: D3B1406E 1802DD1E
	v_pk_mul_f32 v[112:113], v[30:31], v[112:113]              // 000000008378: D3B14070 1802E11E
	v_pk_mul_f32 v[114:115], v[30:31], v[114:115]              // 000000008380: D3B14072 1802E51E
	v_pk_mul_f32 v[116:117], v[30:31], v[116:117]              // 000000008388: D3B14074 1802E91E
	v_pk_mul_f32 v[118:119], v[30:31], v[118:119]              // 000000008390: D3B14076 1802ED1E
	v_pk_mul_f32 v[120:121], v[30:31], v[120:121]              // 000000008398: D3B14078 1802F11E
	v_pk_mul_f32 v[122:123], v[30:31], v[122:123]              // 0000000083A0: D3B1407A 1802F51E
	v_pk_mul_f32 v[124:125], v[30:31], v[124:125]              // 0000000083A8: D3B1407C 1802F91E
	v_pk_mul_f32 v[126:127], v[30:31], v[126:127]              // 0000000083B0: D3B1407E 1802FD1E
	v_pk_mul_f32 v[128:129], v[30:31], v[128:129]              // 0000000083B8: D3B14080 1803011E
	v_pk_mul_f32 v[130:131], v[30:31], v[130:131]              // 0000000083C0: D3B14082 1803051E
	v_pk_mul_f32 v[132:133], v[30:31], v[132:133]              // 0000000083C8: D3B14084 1803091E
	v_pk_mul_f32 v[134:135], v[30:31], v[134:135]              // 0000000083D0: D3B14086 18030D1E
	v_pk_mul_f32 v[136:137], v[30:31], v[136:137]              // 0000000083D8: D3B14088 1803111E
	v_pk_mul_f32 v[138:139], v[30:31], v[138:139]              // 0000000083E0: D3B1408A 1803151E
	v_pk_mul_f32 v[140:141], v[30:31], v[140:141]              // 0000000083E8: D3B1408C 1803191E
	v_pk_mul_f32 v[142:143], v[30:31], v[142:143]              // 0000000083F0: D3B1408E 18031D1E
	v_pk_mul_f32 v[144:145], v[30:31], v[144:145]              // 0000000083F8: D3B14090 1803211E
	v_pk_mul_f32 v[146:147], v[30:31], v[146:147]              // 000000008400: D3B14092 1803251E
	v_pk_mul_f32 v[148:149], v[30:31], v[148:149]              // 000000008408: D3B14094 1803291E
	v_pk_mul_f32 v[150:151], v[30:31], v[150:151]              // 000000008410: D3B14096 18032D1E
	v_pk_mul_f32 v[152:153], v[30:31], v[152:153]              // 000000008418: D3B14098 1803311E
	v_pk_mul_f32 v[154:155], v[30:31], v[154:155]              // 000000008420: D3B1409A 1803351E
	v_pk_mul_f32 v[156:157], v[30:31], v[156:157]              // 000000008428: D3B1409C 1803391E
	v_pk_mul_f32 v[158:159], v[30:31], v[158:159]              // 000000008430: D3B1409E 18033D1E
	v_pk_mul_f32 v[160:161], v[30:31], v[160:161]              // 000000008438: D3B140A0 1803411E
	v_pk_mul_f32 v[162:163], v[30:31], v[162:163]              // 000000008440: D3B140A2 1803451E
	v_pk_mul_f32 v[164:165], v[30:31], v[164:165]              // 000000008448: D3B140A4 1803491E
	v_pk_mul_f32 v[166:167], v[30:31], v[166:167]              // 000000008450: D3B140A6 18034D1E
	v_pk_mul_f32 v[168:169], v[30:31], v[168:169]              // 000000008458: D3B140A8 1803511E
	v_pk_mul_f32 v[170:171], v[30:31], v[170:171]              // 000000008460: D3B140AA 1803551E
	v_pk_mul_f32 v[172:173], v[30:31], v[172:173]              // 000000008468: D3B140AC 1803591E
	v_pk_mul_f32 v[174:175], v[30:31], v[174:175]              // 000000008470: D3B140AE 18035D1E
	v_pk_mul_f32 v[176:177], v[30:31], v[176:177]              // 000000008478: D3B140B0 1803611E
	v_mfma_f32_16x16x32_bf16 v[46:49], a[140:143], a[68:71], v[46:49]// 000000008480: D3B5002E 1CBA898C
	s_addk_i32 s70, 0x1                                        // 000000008488: B7460001
	s_cmp_lt_i32 s70, s71                                      // 00000000848C: BF044746
	s_cbranch_scc0 label_39C8                                  // 000000008490: BF84F68D
	s_branch label_39D4                                        // 000000008494: BF82F68F

0000000000008498 <label_5F98>:
	ds_read_b64_tr_b16 a[144:145], v12                         // 000000008498: DBC60000 9000000C
	ds_read_b64_tr_b16 a[146:147], v12 offset:256              // 0000000084A0: DBC60100 9200000C
	ds_read_b64_tr_b16 a[148:149], v13                         // 0000000084A8: DBC60000 9400000D
	ds_read_b64_tr_b16 a[150:151], v13 offset:256              // 0000000084B0: DBC60100 9600000D
	ds_read_b64_tr_b16 a[152:153], v12 offset:1024             // 0000000084B8: DBC60400 9800000C
	ds_read_b64_tr_b16 a[154:155], v12 offset:1280             // 0000000084C0: DBC60500 9A00000C
	ds_read_b64_tr_b16 a[156:157], v13 offset:1024             // 0000000084C8: DBC60400 9C00000D
	ds_read_b64_tr_b16 a[158:159], v13 offset:1280             // 0000000084D0: DBC60500 9E00000D
	ds_read_b64_tr_b16 a[160:161], v12 offset:2048             // 0000000084D8: DBC60800 A000000C
	ds_read_b64_tr_b16 a[162:163], v12 offset:2304             // 0000000084E0: DBC60900 A200000C
	ds_read_b64_tr_b16 a[164:165], v13 offset:2048             // 0000000084E8: DBC60800 A400000D
	ds_read_b64_tr_b16 a[166:167], v13 offset:2304             // 0000000084F0: DBC60900 A600000D
	ds_read_b64_tr_b16 a[168:169], v12 offset:3072             // 0000000084F8: DBC60C00 A800000C
	ds_read_b64_tr_b16 a[170:171], v12 offset:3328             // 000000008500: DBC60D00 AA00000C
	ds_read_b64_tr_b16 a[172:173], v13 offset:3072             // 000000008508: DBC60C00 AC00000D
	ds_read_b64_tr_b16 a[174:175], v13 offset:3328             // 000000008510: DBC60D00 AE00000D
	s_waitcnt lgkmcnt(0)                                       // 000000008518: BF8CC07F
	v_mfma_f32_16x16x32_bf16 v[50:53], a[144:147], v[34:37], v[50:53]// 00000000851C: D3B50032 0CCA4590
	ds_read_b64_tr_b16 a[176:177], v12 offset:4096             // 000000008524: DBC61000 B000000C
	ds_read_b64_tr_b16 a[178:179], v12 offset:4352             // 00000000852C: DBC61100 B200000C
	ds_read_b64_tr_b16 a[180:181], v13 offset:4096             // 000000008534: DBC61000 B400000D
	ds_read_b64_tr_b16 a[182:183], v13 offset:4352             // 00000000853C: DBC61100 B600000D
	v_mfma_f32_16x16x32_bf16 v[54:57], a[148:151], v[34:37], v[54:57]// 000000008544: D3B50036 0CDA4594
	v_mfma_f32_16x16x32_bf16 v[58:61], a[152:155], v[34:37], v[58:61]// 00000000854C: D3B5003A 0CEA4598
	ds_read_b64_tr_b16 a[184:185], v12 offset:5120             // 000000008554: DBC61400 B800000C
	ds_read_b64_tr_b16 a[186:187], v12 offset:5376             // 00000000855C: DBC61500 BA00000C
	ds_read_b64_tr_b16 a[188:189], v13 offset:5120             // 000000008564: DBC61400 BC00000D
	ds_read_b64_tr_b16 a[190:191], v13 offset:5376             // 00000000856C: DBC61500 BE00000D
	v_mfma_f32_16x16x32_bf16 v[62:65], a[156:159], v[34:37], v[62:65]// 000000008574: D3B5003E 0CFA459C
	v_mfma_f32_16x16x32_bf16 v[66:69], a[160:163], v[34:37], v[66:69]// 00000000857C: D3B50042 0D0A45A0
	ds_read_b64_tr_b16 a[192:193], v12 offset:6144             // 000000008584: DBC61800 C000000C
	ds_read_b64_tr_b16 a[194:195], v12 offset:6400             // 00000000858C: DBC61900 C200000C
	ds_read_b64_tr_b16 a[196:197], v13 offset:6144             // 000000008594: DBC61800 C400000D
	ds_read_b64_tr_b16 a[198:199], v13 offset:6400             // 00000000859C: DBC61900 C600000D
	v_mfma_f32_16x16x32_bf16 v[70:73], a[164:167], v[34:37], v[70:73]// 0000000085A4: D3B50046 0D1A45A4
	v_mfma_f32_16x16x32_bf16 v[74:77], a[168:171], v[34:37], v[74:77]// 0000000085AC: D3B5004A 0D2A45A8
	ds_read_b64_tr_b16 a[200:201], v12 offset:7168             // 0000000085B4: DBC61C00 C800000C
	ds_read_b64_tr_b16 a[202:203], v12 offset:7424             // 0000000085BC: DBC61D00 CA00000C
	ds_read_b64_tr_b16 a[204:205], v13 offset:7168             // 0000000085C4: DBC61C00 CC00000D
	ds_read_b64_tr_b16 a[206:207], v13 offset:7424             // 0000000085CC: DBC61D00 CE00000D
	v_mfma_f32_16x16x32_bf16 v[78:81], a[172:175], v[34:37], v[78:81]// 0000000085D4: D3B5004E 0D3A45AC
	v_mfma_f32_16x16x32_bf16 v[82:85], a[176:179], v[34:37], v[82:85]// 0000000085DC: D3B50052 0D4A45B0
	ds_read_b64_tr_b16 a[144:145], v12 offset:8192             // 0000000085E4: DBC62000 9000000C
	ds_read_b64_tr_b16 a[146:147], v12 offset:8448             // 0000000085EC: DBC62100 9200000C
	ds_read_b64_tr_b16 a[148:149], v13 offset:8192             // 0000000085F4: DBC62000 9400000D
	ds_read_b64_tr_b16 a[150:151], v13 offset:8448             // 0000000085FC: DBC62100 9600000D
	v_mfma_f32_16x16x32_bf16 v[86:89], a[180:183], v[34:37], v[86:89]// 000000008604: D3B50056 0D5A45B4
	v_mfma_f32_16x16x32_bf16 v[90:93], a[184:187], v[34:37], v[90:93]// 00000000860C: D3B5005A 0D6A45B8
	ds_read_b64_tr_b16 a[152:153], v12 offset:9216             // 000000008614: DBC62400 9800000C
	ds_read_b64_tr_b16 a[154:155], v12 offset:9472             // 00000000861C: DBC62500 9A00000C
	ds_read_b64_tr_b16 a[156:157], v13 offset:9216             // 000000008624: DBC62400 9C00000D
	ds_read_b64_tr_b16 a[158:159], v13 offset:9472             // 00000000862C: DBC62500 9E00000D
	v_mfma_f32_16x16x32_bf16 v[94:97], a[188:191], v[34:37], v[94:97]// 000000008634: D3B5005E 0D7A45BC
	v_mfma_f32_16x16x32_bf16 v[98:101], a[192:195], v[34:37], v[98:101]// 00000000863C: D3B50062 0D8A45C0
	ds_read_b64_tr_b16 a[160:161], v12 offset:10240            // 000000008644: DBC62800 A000000C
	ds_read_b64_tr_b16 a[162:163], v12 offset:10496            // 00000000864C: DBC62900 A200000C
	ds_read_b64_tr_b16 a[164:165], v13 offset:10240            // 000000008654: DBC62800 A400000D
	ds_read_b64_tr_b16 a[166:167], v13 offset:10496            // 00000000865C: DBC62900 A600000D
	v_mfma_f32_16x16x32_bf16 v[102:105], a[196:199], v[34:37], v[102:105]// 000000008664: D3B50066 0D9A45C4
	v_mfma_f32_16x16x32_bf16 v[106:109], a[200:203], v[34:37], v[106:109]// 00000000866C: D3B5006A 0DAA45C8
	ds_read_b64_tr_b16 a[168:169], v12 offset:11264            // 000000008674: DBC62C00 A800000C
	ds_read_b64_tr_b16 a[170:171], v12 offset:11520            // 00000000867C: DBC62D00 AA00000C
	ds_read_b64_tr_b16 a[172:173], v13 offset:11264            // 000000008684: DBC62C00 AC00000D
	ds_read_b64_tr_b16 a[174:175], v13 offset:11520            // 00000000868C: DBC62D00 AE00000D
	v_mfma_f32_16x16x32_bf16 v[110:113], a[204:207], v[34:37], v[110:113]// 000000008694: D3B5006E 0DBA45CC
	v_mfma_f32_16x16x32_bf16 v[114:117], a[144:147], v[34:37], v[114:117]// 00000000869C: D3B50072 0DCA4590
	ds_read_b64_tr_b16 a[176:177], v12 offset:12288            // 0000000086A4: DBC63000 B000000C
	ds_read_b64_tr_b16 a[178:179], v12 offset:12544            // 0000000086AC: DBC63100 B200000C
	ds_read_b64_tr_b16 a[180:181], v13 offset:12288            // 0000000086B4: DBC63000 B400000D
	ds_read_b64_tr_b16 a[182:183], v13 offset:12544            // 0000000086BC: DBC63100 B600000D
	v_mfma_f32_16x16x32_bf16 v[118:121], a[148:151], v[34:37], v[118:121]// 0000000086C4: D3B50076 0DDA4594
	ds_read_b64_tr_b16 a[184:185], v12 offset:13312            // 0000000086CC: DBC63400 B800000C
	ds_read_b64_tr_b16 a[186:187], v12 offset:13568            // 0000000086D4: DBC63500 BA00000C
	ds_read_b64_tr_b16 a[188:189], v13 offset:13312            // 0000000086DC: DBC63400 BC00000D
	ds_read_b64_tr_b16 a[190:191], v13 offset:13568            // 0000000086E4: DBC63500 BE00000D
	v_mfma_f32_16x16x32_bf16 v[122:125], a[152:155], v[34:37], v[122:125]// 0000000086EC: D3B5007A 0DEA4598
	ds_read_b64_tr_b16 a[192:193], v12 offset:14336            // 0000000086F4: DBC63800 C000000C
	ds_read_b64_tr_b16 a[194:195], v12 offset:14592            // 0000000086FC: DBC63900 C200000C
	ds_read_b64_tr_b16 a[196:197], v13 offset:14336            // 000000008704: DBC63800 C400000D
	ds_read_b64_tr_b16 a[198:199], v13 offset:14592            // 00000000870C: DBC63900 C600000D
	v_mfma_f32_16x16x32_bf16 v[126:129], a[156:159], v[34:37], v[126:129]// 000000008714: D3B5007E 0DFA459C
	ds_read_b64_tr_b16 a[200:201], v12 offset:15360            // 00000000871C: DBC63C00 C800000C
	ds_read_b64_tr_b16 a[202:203], v12 offset:15616            // 000000008724: DBC63D00 CA00000C
	ds_read_b64_tr_b16 a[204:205], v13 offset:15360            // 00000000872C: DBC63C00 CC00000D
	ds_read_b64_tr_b16 a[206:207], v13 offset:15616            // 000000008734: DBC63D00 CE00000D
	v_mfma_f32_16x16x32_bf16 v[130:133], a[160:163], v[34:37], v[130:133]// 00000000873C: D3B50082 0E0A45A0
	v_mfma_f32_16x16x32_bf16 v[134:137], a[164:167], v[34:37], v[134:137]// 000000008744: D3B50086 0E1A45A4
	v_mfma_f32_16x16x32_bf16 v[138:141], a[168:171], v[34:37], v[138:141]// 00000000874C: D3B5008A 0E2A45A8
	v_mfma_f32_16x16x32_bf16 v[142:145], a[172:175], v[34:37], v[142:145]// 000000008754: D3B5008E 0E3A45AC
	v_mfma_f32_16x16x32_bf16 v[146:149], a[176:179], v[34:37], v[146:149]// 00000000875C: D3B50092 0E4A45B0
	v_mfma_f32_16x16x32_bf16 v[150:153], a[180:183], v[34:37], v[150:153]// 000000008764: D3B50096 0E5A45B4
	v_mfma_f32_16x16x32_bf16 v[154:157], a[184:187], v[34:37], v[154:157]// 00000000876C: D3B5009A 0E6A45B8
	v_mfma_f32_16x16x32_bf16 v[158:161], a[188:191], v[34:37], v[158:161]// 000000008774: D3B5009E 0E7A45BC
	v_mfma_f32_16x16x32_bf16 v[162:165], a[192:195], v[34:37], v[162:165]// 00000000877C: D3B500A2 0E8A45C0
	v_mfma_f32_16x16x32_bf16 v[166:169], a[196:199], v[34:37], v[166:169]// 000000008784: D3B500A6 0E9A45C4
	v_mfma_f32_16x16x32_bf16 v[170:173], a[200:203], v[34:37], v[170:173]// 00000000878C: D3B500AA 0EAA45C8
	v_mfma_f32_16x16x32_bf16 v[174:177], a[204:207], v[34:37], v[174:177]// 000000008794: D3B500AE 0EBA45CC
	s_branch label_86C4                                        // 00000000879C: BF820909

00000000000087a0 <label_62A0>:
	s_and_b32 s56, 3, s71                                      // 0000000087A0: 86384783
	s_cmp_eq_i32 s56, 0                                        // 0000000087A4: BF008038
	s_cbranch_scc1 label_74C4                                  // 0000000087A8: BF850486
	s_cmp_eq_i32 s56, 1                                        // 0000000087AC: BF008138
	s_cbranch_scc1 label_7DC4                                  // 0000000087B0: BF8506C4
	s_cmp_eq_i32 s56, 3                                        // 0000000087B4: BF008338
	s_cbranch_scc1 label_6BC4                                  // 0000000087B8: BF850242
	s_cmp_eq_i32 s56, 2                                        // 0000000087BC: BF008238
	s_cbranch_scc1 label_62C4                                  // 0000000087C0: BF850000

00000000000087c4 <label_62C4>:
	s_nop 2                                                    // 0000000087C4: BF800002
	v_mov_b32_e32 v29, v42                                     // 0000000087C8: 7E3A032A
	v_max3_f32 v29, v42, v43, v29                              // 0000000087CC: D1D3001D 0476572A
	v_max3_f32 v29, v44, v45, v29                              // 0000000087D4: D1D3001D 04765B2C
	v_max3_f32 v29, v46, v47, v29                              // 0000000087DC: D1D3001D 04765F2E
	v_max3_f32 v29, v48, v49, v29                              // 0000000087E4: D1D3001D 04766330
	v_mov_b32_e32 v28, v29                                     // 0000000087EC: 7E38031D
	v_mov_b32_e32 v29, v29                                     // 0000000087F0: 7E3A031D
	s_nop 1                                                    // 0000000087F4: BF800001
	v_permlane16_swap_b32_e32 v28, v29                         // 0000000087F8: 7E38B31D
	v_mov_b32_e32 v31, v28                                     // 0000000087FC: 7E3E031C
	v_mov_b32_e32 v30, v29                                     // 000000008800: 7E3C031D
	s_nop 1                                                    // 000000008804: BF800001
	v_permlane32_swap_b32_e32 v28, v29                         // 000000008808: 7E38B51D
	v_permlane32_swap_b32_e32 v30, v31                         // 00000000880C: 7E3CB51F
	v_max3_f32 v29, v28, v29, v29                              // 000000008810: D1D3001D 04763B1C
	v_max3_f32 v29, v30, v31, v29                              // 000000008818: D1D3001D 04763F1E
	v_mov_b32_e32 v28, 0xff800000                              // 000000008820: 7E3802FF FF800000
	v_cmp_eq_u32_e64 s[36:37], v28, v2                         // 000000008828: D0CA0024 0002051C
	v_max_f32_e32 v29, v29, v2                                 // 000000008830: 163A051D
	v_sub_f32_e32 v16, v2, v29                                 // 000000008834: 04203B02
	v_cndmask_b32_e64 v16, v16, 0, s[36:37]                    // 000000008838: D1000010 00910110
	v_mov_b32_e32 v2, v29                                      // 000000008840: 7E04031D
	v_mul_f32_e32 v29, s5, v29                                 // 000000008844: 0A3A3A05
	v_mul_f32_e32 v16, s5, v16                                 // 000000008848: 0A202005
	v_exp_f32_e32 v16, v16                                     // 00000000884C: 7E204110
	v_fma_f32 v42, v42, s5, -v29                               // 000000008850: D1CB002A 84740B2A
	v_fma_f32 v43, v43, s5, -v29                               // 000000008858: D1CB002B 84740B2B
	v_fma_f32 v44, v44, s5, -v29                               // 000000008860: D1CB002C 84740B2C
	v_fma_f32 v45, v45, s5, -v29                               // 000000008868: D1CB002D 84740B2D
	v_fma_f32 v46, v46, s5, -v29                               // 000000008870: D1CB002E 84740B2E
	v_fma_f32 v47, v47, s5, -v29                               // 000000008878: D1CB002F 84740B2F
	v_fma_f32 v48, v48, s5, -v29                               // 000000008880: D1CB0030 84740B30
	v_fma_f32 v49, v49, s5, -v29                               // 000000008888: D1CB0031 84740B31
	v_exp_f32_e32 v42, v42                                     // 000000008890: 7E54412A
	v_exp_f32_e32 v43, v43                                     // 000000008894: 7E56412B
	v_exp_f32_e32 v44, v44                                     // 000000008898: 7E58412C
	v_exp_f32_e32 v45, v45                                     // 00000000889C: 7E5A412D
	v_exp_f32_e32 v46, v46                                     // 0000000088A0: 7E5C412E
	v_exp_f32_e32 v47, v47                                     // 0000000088A4: 7E5E412F
	v_exp_f32_e32 v48, v48                                     // 0000000088A8: 7E604130
	v_exp_f32_e32 v49, v49                                     // 0000000088AC: 7E624131
	v_mul_f32_e32 v4, v16, v4                                  // 0000000088B0: 0A080910
	v_mov_b32_e32 v28, v42                                     // 0000000088B4: 7E38032A
	v_add_f32_e32 v28, v43, v28                                // 0000000088B8: 0238392B
	v_add_f32_e32 v28, v44, v28                                // 0000000088BC: 0238392C
	v_add_f32_e32 v28, v45, v28                                // 0000000088C0: 0238392D
	v_add_f32_e32 v28, v46, v28                                // 0000000088C4: 0238392E
	v_add_f32_e32 v28, v47, v28                                // 0000000088C8: 0238392F
	v_add_f32_e32 v28, v48, v28                                // 0000000088CC: 02383930
	v_add_f32_e32 v28, v49, v28                                // 0000000088D0: 02383931
	v_add_f32_e32 v4, v28, v4                                  // 0000000088D4: 0208091C
	v_cvt_pk_bf16_f32 v42, v42, v43                            // 0000000088D8: D268002A 0002572A
	v_cvt_pk_bf16_f32 v43, v44, v45                            // 0000000088E0: D268002B 00025B2C
	v_cvt_pk_bf16_f32 v44, v46, v47                            // 0000000088E8: D268002C 00025F2E
	v_cvt_pk_bf16_f32 v45, v48, v49                            // 0000000088F0: D268002D 00026330
	s_nop 0                                                    // 0000000088F8: BF800000
	v_permlane32_swap_b32_e32 v42, v44                         // 0000000088FC: 7E54B52C
	v_permlane32_swap_b32_e32 v43, v45                         // 000000008900: 7E56B52D
	s_nop 0                                                    // 000000008904: BF800000
	v_permlane16_swap_b32_e32 v42, v44                         // 000000008908: 7E54B32C
	v_permlane16_swap_b32_e32 v43, v45                         // 00000000890C: 7E56B32D
	s_waitcnt lgkmcnt(4)                                       // 000000008910: BF8CC47F
	v_mfma_f32_16x16x32_bf16 v[50:53], a[144:147], v[34:37], v[50:53]// 000000008914: D3B50032 0CCA4590
	v_mfma_f32_16x16x32_bf16 v[54:57], a[148:151], v[34:37], v[54:57]// 00000000891C: D3B50036 0CDA4594
	v_mfma_f32_16x16x32_bf16 v[58:61], a[152:155], v[34:37], v[58:61]// 000000008924: D3B5003A 0CEA4598
	v_mfma_f32_16x16x32_bf16 v[62:65], a[156:159], v[34:37], v[62:65]// 00000000892C: D3B5003E 0CFA459C
	v_mfma_f32_16x16x32_bf16 v[66:69], a[160:163], v[34:37], v[66:69]// 000000008934: D3B50042 0D0A45A0
	v_mfma_f32_16x16x32_bf16 v[70:73], a[164:167], v[34:37], v[70:73]// 00000000893C: D3B50046 0D1A45A4
	v_mfma_f32_16x16x32_bf16 v[74:77], a[168:171], v[34:37], v[74:77]// 000000008944: D3B5004A 0D2A45A8
	v_mfma_f32_16x16x32_bf16 v[78:81], a[172:175], v[34:37], v[78:81]// 00000000894C: D3B5004E 0D3A45AC
	v_mfma_f32_16x16x32_bf16 v[82:85], a[176:179], v[34:37], v[82:85]// 000000008954: D3B50052 0D4A45B0
	v_mfma_f32_16x16x32_bf16 v[86:89], a[180:183], v[34:37], v[86:89]// 00000000895C: D3B50056 0D5A45B4
	v_mfma_f32_16x16x32_bf16 v[90:93], a[184:187], v[34:37], v[90:93]// 000000008964: D3B5005A 0D6A45B8
	v_mfma_f32_16x16x32_bf16 v[94:97], a[188:191], v[34:37], v[94:97]// 00000000896C: D3B5005E 0D7A45BC
	v_mfma_f32_16x16x32_bf16 v[98:101], a[192:195], v[34:37], v[98:101]// 000000008974: D3B50062 0D8A45C0
	v_mfma_f32_16x16x32_bf16 v[102:105], a[196:199], v[34:37], v[102:105]// 00000000897C: D3B50066 0D9A45C4
	v_mfma_f32_16x16x32_bf16 v[106:109], a[200:203], v[34:37], v[106:109]// 000000008984: D3B5006A 0DAA45C8
	v_mfma_f32_16x16x32_bf16 v[110:113], a[204:207], v[34:37], v[110:113]// 00000000898C: D3B5006E 0DBA45CC
	ds_read_b64_tr_b16 a[144:145], v12 offset:8192             // 000000008994: DBC62000 9000000C
	ds_read_b64_tr_b16 a[146:147], v12 offset:8448             // 00000000899C: DBC62100 9200000C
	ds_read_b64_tr_b16 a[148:149], v13 offset:8192             // 0000000089A4: DBC62000 9400000D
	ds_read_b64_tr_b16 a[150:151], v13 offset:8448             // 0000000089AC: DBC62100 9600000D
	ds_read_b64_tr_b16 a[152:153], v12 offset:9216             // 0000000089B4: DBC62400 9800000C
	ds_read_b64_tr_b16 a[154:155], v12 offset:9472             // 0000000089BC: DBC62500 9A00000C
	ds_read_b64_tr_b16 a[156:157], v13 offset:9216             // 0000000089C4: DBC62400 9C00000D
	ds_read_b64_tr_b16 a[158:159], v13 offset:9472             // 0000000089CC: DBC62500 9E00000D
	ds_read_b64_tr_b16 a[160:161], v12 offset:10240            // 0000000089D4: DBC62800 A000000C
	ds_read_b64_tr_b16 a[162:163], v12 offset:10496            // 0000000089DC: DBC62900 A200000C
	ds_read_b64_tr_b16 a[164:165], v13 offset:10240            // 0000000089E4: DBC62800 A400000D
	ds_read_b64_tr_b16 a[166:167], v13 offset:10496            // 0000000089EC: DBC62900 A600000D
	ds_read_b64_tr_b16 a[168:169], v12 offset:11264            // 0000000089F4: DBC62C00 A800000C
	ds_read_b64_tr_b16 a[170:171], v12 offset:11520            // 0000000089FC: DBC62D00 AA00000C
	ds_read_b64_tr_b16 a[172:173], v13 offset:11264            // 000000008A04: DBC62C00 AC00000D
	ds_read_b64_tr_b16 a[174:175], v13 offset:11520            // 000000008A0C: DBC62D00 AE00000D
	ds_read_b64_tr_b16 a[176:177], v12 offset:12288            // 000000008A14: DBC63000 B000000C
	ds_read_b64_tr_b16 a[178:179], v12 offset:12544            // 000000008A1C: DBC63100 B200000C
	ds_read_b64_tr_b16 a[180:181], v13 offset:12288            // 000000008A24: DBC63000 B400000D
	ds_read_b64_tr_b16 a[182:183], v13 offset:12544            // 000000008A2C: DBC63100 B600000D
	ds_read_b64_tr_b16 a[184:185], v12 offset:13312            // 000000008A34: DBC63400 B800000C
	ds_read_b64_tr_b16 a[186:187], v12 offset:13568            // 000000008A3C: DBC63500 BA00000C
	ds_read_b64_tr_b16 a[188:189], v13 offset:13312            // 000000008A44: DBC63400 BC00000D
	ds_read_b64_tr_b16 a[190:191], v13 offset:13568            // 000000008A4C: DBC63500 BE00000D
	ds_read_b64_tr_b16 a[192:193], v12 offset:14336            // 000000008A54: DBC63800 C000000C
	ds_read_b64_tr_b16 a[194:195], v12 offset:14592            // 000000008A5C: DBC63900 C200000C
	ds_read_b64_tr_b16 a[196:197], v13 offset:14336            // 000000008A64: DBC63800 C400000D
	ds_read_b64_tr_b16 a[198:199], v13 offset:14592            // 000000008A6C: DBC63900 C600000D
	ds_read_b64_tr_b16 a[200:201], v12 offset:15360            // 000000008A74: DBC63C00 C800000C
	ds_read_b64_tr_b16 a[202:203], v12 offset:15616            // 000000008A7C: DBC63D00 CA00000C
	ds_read_b64_tr_b16 a[204:205], v13 offset:15360            // 000000008A84: DBC63C00 CC00000D
	ds_read_b64_tr_b16 a[206:207], v13 offset:15616            // 000000008A8C: DBC63D00 CE00000D
	s_waitcnt lgkmcnt(0)                                       // 000000008A94: BF8CC07F
	v_mfma_f32_16x16x32_bf16 v[114:117], a[144:147], v[34:37], v[114:117]// 000000008A98: D3B50072 0DCA4590
	v_mfma_f32_16x16x32_bf16 v[118:121], a[148:151], v[34:37], v[118:121]// 000000008AA0: D3B50076 0DDA4594
	v_mfma_f32_16x16x32_bf16 v[122:125], a[152:155], v[34:37], v[122:125]// 000000008AA8: D3B5007A 0DEA4598
	v_mfma_f32_16x16x32_bf16 v[126:129], a[156:159], v[34:37], v[126:129]// 000000008AB0: D3B5007E 0DFA459C
	v_mfma_f32_16x16x32_bf16 v[130:133], a[160:163], v[34:37], v[130:133]// 000000008AB8: D3B50082 0E0A45A0
	v_mfma_f32_16x16x32_bf16 v[134:137], a[164:167], v[34:37], v[134:137]// 000000008AC0: D3B50086 0E1A45A4
	v_mfma_f32_16x16x32_bf16 v[138:141], a[168:171], v[34:37], v[138:141]// 000000008AC8: D3B5008A 0E2A45A8
	v_mfma_f32_16x16x32_bf16 v[142:145], a[172:175], v[34:37], v[142:145]// 000000008AD0: D3B5008E 0E3A45AC
	v_mfma_f32_16x16x32_bf16 v[146:149], a[176:179], v[34:37], v[146:149]// 000000008AD8: D3B50092 0E4A45B0
	v_mfma_f32_16x16x32_bf16 v[150:153], a[180:183], v[34:37], v[150:153]// 000000008AE0: D3B50096 0E5A45B4
	v_mfma_f32_16x16x32_bf16 v[154:157], a[184:187], v[34:37], v[154:157]// 000000008AE8: D3B5009A 0E6A45B8
	v_mfma_f32_16x16x32_bf16 v[158:161], a[188:191], v[34:37], v[158:161]// 000000008AF0: D3B5009E 0E7A45BC
	v_mfma_f32_16x16x32_bf16 v[162:165], a[192:195], v[34:37], v[162:165]// 000000008AF8: D3B500A2 0E8A45C0
	v_mfma_f32_16x16x32_bf16 v[166:169], a[196:199], v[34:37], v[166:169]// 000000008B00: D3B500A6 0E9A45C4
	v_mfma_f32_16x16x32_bf16 v[170:173], a[200:203], v[34:37], v[170:173]// 000000008B08: D3B500AA 0EAA45C8
	v_mfma_f32_16x16x32_bf16 v[174:177], a[204:207], v[34:37], v[174:177]// 000000008B10: D3B500AE 0EBA45CC
	ds_read_b64_tr_b16 a[144:145], v14                         // 000000008B18: DBC60000 9000000E
	ds_read_b64_tr_b16 a[146:147], v14 offset:256              // 000000008B20: DBC60100 9200000E
	ds_read_b64_tr_b16 a[148:149], v15                         // 000000008B28: DBC60000 9400000F
	ds_read_b64_tr_b16 a[150:151], v15 offset:256              // 000000008B30: DBC60100 9600000F
	ds_read_b64_tr_b16 a[152:153], v14 offset:1024             // 000000008B38: DBC60400 9800000E
	ds_read_b64_tr_b16 a[154:155], v14 offset:1280             // 000000008B40: DBC60500 9A00000E
	ds_read_b64_tr_b16 a[156:157], v15 offset:1024             // 000000008B48: DBC60400 9C00000F
	ds_read_b64_tr_b16 a[158:159], v15 offset:1280             // 000000008B50: DBC60500 9E00000F
	ds_read_b64_tr_b16 a[160:161], v14 offset:2048             // 000000008B58: DBC60800 A000000E
	ds_read_b64_tr_b16 a[162:163], v14 offset:2304             // 000000008B60: DBC60900 A200000E
	ds_read_b64_tr_b16 a[164:165], v15 offset:2048             // 000000008B68: DBC60800 A400000F
	ds_read_b64_tr_b16 a[166:167], v15 offset:2304             // 000000008B70: DBC60900 A600000F
	ds_read_b64_tr_b16 a[168:169], v14 offset:3072             // 000000008B78: DBC60C00 A800000E
	ds_read_b64_tr_b16 a[170:171], v14 offset:3328             // 000000008B80: DBC60D00 AA00000E
	ds_read_b64_tr_b16 a[172:173], v15 offset:3072             // 000000008B88: DBC60C00 AC00000F
	ds_read_b64_tr_b16 a[174:175], v15 offset:3328             // 000000008B90: DBC60D00 AE00000F
	ds_read_b64_tr_b16 a[176:177], v14 offset:4096             // 000000008B98: DBC61000 B000000E
	ds_read_b64_tr_b16 a[178:179], v14 offset:4352             // 000000008BA0: DBC61100 B200000E
	ds_read_b64_tr_b16 a[180:181], v15 offset:4096             // 000000008BA8: DBC61000 B400000F
	ds_read_b64_tr_b16 a[182:183], v15 offset:4352             // 000000008BB0: DBC61100 B600000F
	ds_read_b64_tr_b16 a[184:185], v14 offset:5120             // 000000008BB8: DBC61400 B800000E
	ds_read_b64_tr_b16 a[186:187], v14 offset:5376             // 000000008BC0: DBC61500 BA00000E
	ds_read_b64_tr_b16 a[188:189], v15 offset:5120             // 000000008BC8: DBC61400 BC00000F
	ds_read_b64_tr_b16 a[190:191], v15 offset:5376             // 000000008BD0: DBC61500 BE00000F
	ds_read_b64_tr_b16 a[192:193], v14 offset:6144             // 000000008BD8: DBC61800 C000000E
	ds_read_b64_tr_b16 a[194:195], v14 offset:6400             // 000000008BE0: DBC61900 C200000E
	ds_read_b64_tr_b16 a[196:197], v15 offset:6144             // 000000008BE8: DBC61800 C400000F
	ds_read_b64_tr_b16 a[198:199], v15 offset:6400             // 000000008BF0: DBC61900 C600000F
	ds_read_b64_tr_b16 a[200:201], v14 offset:7168             // 000000008BF8: DBC61C00 C800000E
	ds_read_b64_tr_b16 a[202:203], v14 offset:7424             // 000000008C00: DBC61D00 CA00000E
	ds_read_b64_tr_b16 a[204:205], v15 offset:7168             // 000000008C08: DBC61C00 CC00000F
	ds_read_b64_tr_b16 a[206:207], v15 offset:7424             // 000000008C10: DBC61D00 CE00000F
	v_mov_b32_e32 v30, v16                                     // 000000008C18: 7E3C0310
	v_mov_b32_e32 v31, v16                                     // 000000008C1C: 7E3E0310
	v_pk_mul_f32 v[50:51], v[30:31], v[50:51]                  // 000000008C20: D3B14032 1802651E
	v_pk_mul_f32 v[52:53], v[30:31], v[52:53]                  // 000000008C28: D3B14034 1802691E
	v_pk_mul_f32 v[54:55], v[30:31], v[54:55]                  // 000000008C30: D3B14036 18026D1E
	v_pk_mul_f32 v[56:57], v[30:31], v[56:57]                  // 000000008C38: D3B14038 1802711E
	v_pk_mul_f32 v[58:59], v[30:31], v[58:59]                  // 000000008C40: D3B1403A 1802751E
	v_pk_mul_f32 v[60:61], v[30:31], v[60:61]                  // 000000008C48: D3B1403C 1802791E
	v_pk_mul_f32 v[62:63], v[30:31], v[62:63]                  // 000000008C50: D3B1403E 18027D1E
	v_pk_mul_f32 v[64:65], v[30:31], v[64:65]                  // 000000008C58: D3B14040 1802811E
	v_pk_mul_f32 v[66:67], v[30:31], v[66:67]                  // 000000008C60: D3B14042 1802851E
	v_pk_mul_f32 v[68:69], v[30:31], v[68:69]                  // 000000008C68: D3B14044 1802891E
	v_pk_mul_f32 v[70:71], v[30:31], v[70:71]                  // 000000008C70: D3B14046 18028D1E
	v_pk_mul_f32 v[72:73], v[30:31], v[72:73]                  // 000000008C78: D3B14048 1802911E
	v_pk_mul_f32 v[74:75], v[30:31], v[74:75]                  // 000000008C80: D3B1404A 1802951E
	v_pk_mul_f32 v[76:77], v[30:31], v[76:77]                  // 000000008C88: D3B1404C 1802991E
	v_pk_mul_f32 v[78:79], v[30:31], v[78:79]                  // 000000008C90: D3B1404E 18029D1E
	v_pk_mul_f32 v[80:81], v[30:31], v[80:81]                  // 000000008C98: D3B14050 1802A11E
	v_pk_mul_f32 v[82:83], v[30:31], v[82:83]                  // 000000008CA0: D3B14052 1802A51E
	v_pk_mul_f32 v[84:85], v[30:31], v[84:85]                  // 000000008CA8: D3B14054 1802A91E
	v_pk_mul_f32 v[86:87], v[30:31], v[86:87]                  // 000000008CB0: D3B14056 1802AD1E
	v_pk_mul_f32 v[88:89], v[30:31], v[88:89]                  // 000000008CB8: D3B14058 1802B11E
	v_pk_mul_f32 v[90:91], v[30:31], v[90:91]                  // 000000008CC0: D3B1405A 1802B51E
	v_pk_mul_f32 v[92:93], v[30:31], v[92:93]                  // 000000008CC8: D3B1405C 1802B91E
	v_pk_mul_f32 v[94:95], v[30:31], v[94:95]                  // 000000008CD0: D3B1405E 1802BD1E
	v_pk_mul_f32 v[96:97], v[30:31], v[96:97]                  // 000000008CD8: D3B14060 1802C11E
	v_pk_mul_f32 v[98:99], v[30:31], v[98:99]                  // 000000008CE0: D3B14062 1802C51E
	v_pk_mul_f32 v[100:101], v[30:31], v[100:101]              // 000000008CE8: D3B14064 1802C91E
	v_pk_mul_f32 v[102:103], v[30:31], v[102:103]              // 000000008CF0: D3B14066 1802CD1E
	v_pk_mul_f32 v[104:105], v[30:31], v[104:105]              // 000000008CF8: D3B14068 1802D11E
	v_pk_mul_f32 v[106:107], v[30:31], v[106:107]              // 000000008D00: D3B1406A 1802D51E
	v_pk_mul_f32 v[108:109], v[30:31], v[108:109]              // 000000008D08: D3B1406C 1802D91E
	v_pk_mul_f32 v[110:111], v[30:31], v[110:111]              // 000000008D10: D3B1406E 1802DD1E
	v_pk_mul_f32 v[112:113], v[30:31], v[112:113]              // 000000008D18: D3B14070 1802E11E
	v_pk_mul_f32 v[114:115], v[30:31], v[114:115]              // 000000008D20: D3B14072 1802E51E
	v_pk_mul_f32 v[116:117], v[30:31], v[116:117]              // 000000008D28: D3B14074 1802E91E
	v_pk_mul_f32 v[118:119], v[30:31], v[118:119]              // 000000008D30: D3B14076 1802ED1E
	v_pk_mul_f32 v[120:121], v[30:31], v[120:121]              // 000000008D38: D3B14078 1802F11E
	v_pk_mul_f32 v[122:123], v[30:31], v[122:123]              // 000000008D40: D3B1407A 1802F51E
	v_pk_mul_f32 v[124:125], v[30:31], v[124:125]              // 000000008D48: D3B1407C 1802F91E
	v_pk_mul_f32 v[126:127], v[30:31], v[126:127]              // 000000008D50: D3B1407E 1802FD1E
	v_pk_mul_f32 v[128:129], v[30:31], v[128:129]              // 000000008D58: D3B14080 1803011E
	v_pk_mul_f32 v[130:131], v[30:31], v[130:131]              // 000000008D60: D3B14082 1803051E
	v_pk_mul_f32 v[132:133], v[30:31], v[132:133]              // 000000008D68: D3B14084 1803091E
	v_pk_mul_f32 v[134:135], v[30:31], v[134:135]              // 000000008D70: D3B14086 18030D1E
	v_pk_mul_f32 v[136:137], v[30:31], v[136:137]              // 000000008D78: D3B14088 1803111E
	v_pk_mul_f32 v[138:139], v[30:31], v[138:139]              // 000000008D80: D3B1408A 1803151E
	v_pk_mul_f32 v[140:141], v[30:31], v[140:141]              // 000000008D88: D3B1408C 1803191E
	v_pk_mul_f32 v[142:143], v[30:31], v[142:143]              // 000000008D90: D3B1408E 18031D1E
	v_pk_mul_f32 v[144:145], v[30:31], v[144:145]              // 000000008D98: D3B14090 1803211E
	v_pk_mul_f32 v[146:147], v[30:31], v[146:147]              // 000000008DA0: D3B14092 1803251E
	v_pk_mul_f32 v[148:149], v[30:31], v[148:149]              // 000000008DA8: D3B14094 1803291E
	v_pk_mul_f32 v[150:151], v[30:31], v[150:151]              // 000000008DB0: D3B14096 18032D1E
	v_pk_mul_f32 v[152:153], v[30:31], v[152:153]              // 000000008DB8: D3B14098 1803311E
	v_pk_mul_f32 v[154:155], v[30:31], v[154:155]              // 000000008DC0: D3B1409A 1803351E
	v_pk_mul_f32 v[156:157], v[30:31], v[156:157]              // 000000008DC8: D3B1409C 1803391E
	v_pk_mul_f32 v[158:159], v[30:31], v[158:159]              // 000000008DD0: D3B1409E 18033D1E
	v_pk_mul_f32 v[160:161], v[30:31], v[160:161]              // 000000008DD8: D3B140A0 1803411E
	v_pk_mul_f32 v[162:163], v[30:31], v[162:163]              // 000000008DE0: D3B140A2 1803451E
	v_pk_mul_f32 v[164:165], v[30:31], v[164:165]              // 000000008DE8: D3B140A4 1803491E
	v_pk_mul_f32 v[166:167], v[30:31], v[166:167]              // 000000008DF0: D3B140A6 18034D1E
	v_pk_mul_f32 v[168:169], v[30:31], v[168:169]              // 000000008DF8: D3B140A8 1803511E
	v_pk_mul_f32 v[170:171], v[30:31], v[170:171]              // 000000008E00: D3B140AA 1803551E
	v_pk_mul_f32 v[172:173], v[30:31], v[172:173]              // 000000008E08: D3B140AC 1803591E
	v_pk_mul_f32 v[174:175], v[30:31], v[174:175]              // 000000008E10: D3B140AE 18035D1E
	v_pk_mul_f32 v[176:177], v[30:31], v[176:177]              // 000000008E18: D3B140B0 1803611E
	s_waitcnt lgkmcnt(4)                                       // 000000008E20: BF8CC47F
	v_mfma_f32_16x16x32_bf16 v[50:53], a[144:147], v[42:45], v[50:53]// 000000008E24: D3B50032 0CCA5590
	v_mfma_f32_16x16x32_bf16 v[54:57], a[148:151], v[42:45], v[54:57]// 000000008E2C: D3B50036 0CDA5594
	v_mfma_f32_16x16x32_bf16 v[58:61], a[152:155], v[42:45], v[58:61]// 000000008E34: D3B5003A 0CEA5598
	v_mfma_f32_16x16x32_bf16 v[62:65], a[156:159], v[42:45], v[62:65]// 000000008E3C: D3B5003E 0CFA559C
	v_mfma_f32_16x16x32_bf16 v[66:69], a[160:163], v[42:45], v[66:69]// 000000008E44: D3B50042 0D0A55A0
	v_mfma_f32_16x16x32_bf16 v[70:73], a[164:167], v[42:45], v[70:73]// 000000008E4C: D3B50046 0D1A55A4
	v_mfma_f32_16x16x32_bf16 v[74:77], a[168:171], v[42:45], v[74:77]// 000000008E54: D3B5004A 0D2A55A8
	v_mfma_f32_16x16x32_bf16 v[78:81], a[172:175], v[42:45], v[78:81]// 000000008E5C: D3B5004E 0D3A55AC
	v_mfma_f32_16x16x32_bf16 v[82:85], a[176:179], v[42:45], v[82:85]// 000000008E64: D3B50052 0D4A55B0
	v_mfma_f32_16x16x32_bf16 v[86:89], a[180:183], v[42:45], v[86:89]// 000000008E6C: D3B50056 0D5A55B4
	v_mfma_f32_16x16x32_bf16 v[90:93], a[184:187], v[42:45], v[90:93]// 000000008E74: D3B5005A 0D6A55B8
	v_mfma_f32_16x16x32_bf16 v[94:97], a[188:191], v[42:45], v[94:97]// 000000008E7C: D3B5005E 0D7A55BC
	v_mfma_f32_16x16x32_bf16 v[98:101], a[192:195], v[42:45], v[98:101]// 000000008E84: D3B50062 0D8A55C0
	v_mfma_f32_16x16x32_bf16 v[102:105], a[196:199], v[42:45], v[102:105]// 000000008E8C: D3B50066 0D9A55C4
	v_mfma_f32_16x16x32_bf16 v[106:109], a[200:203], v[42:45], v[106:109]// 000000008E94: D3B5006A 0DAA55C8
	v_mfma_f32_16x16x32_bf16 v[110:113], a[204:207], v[42:45], v[110:113]// 000000008E9C: D3B5006E 0DBA55CC
	ds_read_b64_tr_b16 a[144:145], v14 offset:8192             // 000000008EA4: DBC62000 9000000E
	ds_read_b64_tr_b16 a[146:147], v14 offset:8448             // 000000008EAC: DBC62100 9200000E
	ds_read_b64_tr_b16 a[148:149], v15 offset:8192             // 000000008EB4: DBC62000 9400000F
	ds_read_b64_tr_b16 a[150:151], v15 offset:8448             // 000000008EBC: DBC62100 9600000F
	ds_read_b64_tr_b16 a[152:153], v14 offset:9216             // 000000008EC4: DBC62400 9800000E
	ds_read_b64_tr_b16 a[154:155], v14 offset:9472             // 000000008ECC: DBC62500 9A00000E
	ds_read_b64_tr_b16 a[156:157], v15 offset:9216             // 000000008ED4: DBC62400 9C00000F
	ds_read_b64_tr_b16 a[158:159], v15 offset:9472             // 000000008EDC: DBC62500 9E00000F
	ds_read_b64_tr_b16 a[160:161], v14 offset:10240            // 000000008EE4: DBC62800 A000000E
	ds_read_b64_tr_b16 a[162:163], v14 offset:10496            // 000000008EEC: DBC62900 A200000E
	ds_read_b64_tr_b16 a[164:165], v15 offset:10240            // 000000008EF4: DBC62800 A400000F
	ds_read_b64_tr_b16 a[166:167], v15 offset:10496            // 000000008EFC: DBC62900 A600000F
	ds_read_b64_tr_b16 a[168:169], v14 offset:11264            // 000000008F04: DBC62C00 A800000E
	ds_read_b64_tr_b16 a[170:171], v14 offset:11520            // 000000008F0C: DBC62D00 AA00000E
	ds_read_b64_tr_b16 a[172:173], v15 offset:11264            // 000000008F14: DBC62C00 AC00000F
	ds_read_b64_tr_b16 a[174:175], v15 offset:11520            // 000000008F1C: DBC62D00 AE00000F
	ds_read_b64_tr_b16 a[176:177], v14 offset:12288            // 000000008F24: DBC63000 B000000E
	ds_read_b64_tr_b16 a[178:179], v14 offset:12544            // 000000008F2C: DBC63100 B200000E
	ds_read_b64_tr_b16 a[180:181], v15 offset:12288            // 000000008F34: DBC63000 B400000F
	ds_read_b64_tr_b16 a[182:183], v15 offset:12544            // 000000008F3C: DBC63100 B600000F
	ds_read_b64_tr_b16 a[184:185], v14 offset:13312            // 000000008F44: DBC63400 B800000E
	ds_read_b64_tr_b16 a[186:187], v14 offset:13568            // 000000008F4C: DBC63500 BA00000E
	ds_read_b64_tr_b16 a[188:189], v15 offset:13312            // 000000008F54: DBC63400 BC00000F
	ds_read_b64_tr_b16 a[190:191], v15 offset:13568            // 000000008F5C: DBC63500 BE00000F
	ds_read_b64_tr_b16 a[192:193], v14 offset:14336            // 000000008F64: DBC63800 C000000E
	ds_read_b64_tr_b16 a[194:195], v14 offset:14592            // 000000008F6C: DBC63900 C200000E
	ds_read_b64_tr_b16 a[196:197], v15 offset:14336            // 000000008F74: DBC63800 C400000F
	ds_read_b64_tr_b16 a[198:199], v15 offset:14592            // 000000008F7C: DBC63900 C600000F
	ds_read_b64_tr_b16 a[200:201], v14 offset:15360            // 000000008F84: DBC63C00 C800000E
	ds_read_b64_tr_b16 a[202:203], v14 offset:15616            // 000000008F8C: DBC63D00 CA00000E
	ds_read_b64_tr_b16 a[204:205], v15 offset:15360            // 000000008F94: DBC63C00 CC00000F
	ds_read_b64_tr_b16 a[206:207], v15 offset:15616            // 000000008F9C: DBC63D00 CE00000F
	s_waitcnt vmcnt(0)                                         // 000000008FA4: BF8C0F70
	s_barrier                                                  // 000000008FA8: BF8A0000
	s_waitcnt lgkmcnt(0)                                       // 000000008FAC: BF8CC07F
	v_mfma_f32_16x16x32_bf16 v[114:117], a[144:147], v[42:45], v[114:117]// 000000008FB0: D3B50072 0DCA5590
	ds_read_b128 a[72:75], v18                                 // 000000008FB8: DBFE0000 48000012
	ds_read_b128 a[76:79], v18 offset:1024                     // 000000008FC0: DBFE0400 4C000012
	v_mfma_f32_16x16x32_bf16 v[118:121], a[148:151], v[42:45], v[118:121]// 000000008FC8: D3B50076 0DDA5594
	ds_read_b128 a[80:83], v18 offset:2048                     // 000000008FD0: DBFE0800 50000012
	ds_read_b128 a[84:87], v18 offset:3072                     // 000000008FD8: DBFE0C00 54000012
	v_mfma_f32_16x16x32_bf16 v[122:125], a[152:155], v[42:45], v[122:125]// 000000008FE0: D3B5007A 0DEA5598
	ds_read_b128 a[88:91], v18 offset:4096                     // 000000008FE8: DBFE1000 58000012
	ds_read_b128 a[92:95], v18 offset:5120                     // 000000008FF0: DBFE1400 5C000012
	v_mfma_f32_16x16x32_bf16 v[126:129], a[156:159], v[42:45], v[126:129]// 000000008FF8: D3B5007E 0DFA559C
	ds_read_b128 a[96:99], v18 offset:6144                     // 000000009000: DBFE1800 60000012
	ds_read_b128 a[100:103], v18 offset:7168                   // 000000009008: DBFE1C00 64000012
	v_mfma_f32_16x16x32_bf16 v[130:133], a[160:163], v[42:45], v[130:133]// 000000009010: D3B50082 0E0A55A0
	ds_read_b128 a[104:107], v18 offset:8192                   // 000000009018: DBFE2000 68000012
	ds_read_b128 a[108:111], v18 offset:9216                   // 000000009020: DBFE2400 6C000012
	v_mfma_f32_16x16x32_bf16 v[134:137], a[164:167], v[42:45], v[134:137]// 000000009028: D3B50086 0E1A55A4
	ds_read_b128 a[112:115], v18 offset:10240                  // 000000009030: DBFE2800 70000012
	ds_read_b128 a[116:119], v18 offset:11264                  // 000000009038: DBFE2C00 74000012
	v_mfma_f32_16x16x32_bf16 v[138:141], a[168:171], v[42:45], v[138:141]// 000000009040: D3B5008A 0E2A55A8
	ds_read_b128 a[120:123], v18 offset:12288                  // 000000009048: DBFE3000 78000012
	ds_read_b128 a[124:127], v18 offset:13312                  // 000000009050: DBFE3400 7C000012
	v_mfma_f32_16x16x32_bf16 v[142:145], a[172:175], v[42:45], v[142:145]// 000000009058: D3B5008E 0E3A55AC
	ds_read_b128 a[128:131], v18 offset:14336                  // 000000009060: DBFE3800 80000012
	ds_read_b128 a[132:135], v18 offset:15360                  // 000000009068: DBFE3C00 84000012
	v_mfma_f32_16x16x32_bf16 v[146:149], a[176:179], v[42:45], v[146:149]// 000000009070: D3B50092 0E4A55B0
	ds_read_b128 a[136:139], v18 offset:16384                  // 000000009078: DBFE4000 88000012
	ds_read_b128 a[140:143], v18 offset:17408                  // 000000009080: DBFE4400 8C000012
	v_mfma_f32_16x16x32_bf16 v[150:153], a[180:183], v[42:45], v[150:153]// 000000009088: D3B50096 0E5A55B4
	v_mfma_f32_16x16x32_bf16 v[154:157], a[184:187], v[42:45], v[154:157]// 000000009090: D3B5009A 0E6A55B8
	v_mfma_f32_16x16x32_bf16 v[158:161], a[188:191], v[42:45], v[158:161]// 000000009098: D3B5009E 0E7A55BC
	v_mfma_f32_16x16x32_bf16 v[162:165], a[192:195], v[42:45], v[162:165]// 0000000090A0: D3B500A2 0E8A55C0
	v_mfma_f32_16x16x32_bf16 v[166:169], a[196:199], v[42:45], v[166:169]// 0000000090A8: D3B500A6 0E9A55C4
	v_mfma_f32_16x16x32_bf16 v[170:173], a[200:203], v[42:45], v[170:173]// 0000000090B0: D3B500AA 0EAA55C8
	v_mfma_f32_16x16x32_bf16 v[174:177], a[204:207], v[42:45], v[174:177]// 0000000090B8: D3B500AE 0EBA55CC
	s_branch label_86C4                                        // 0000000090C0: BF8206C0

00000000000090c4 <label_6BC4>:
	s_nop 2                                                    // 0000000090C4: BF800002
	v_mov_b32_e32 v29, v34                                     // 0000000090C8: 7E3A0322
	v_max3_f32 v29, v34, v35, v29                              // 0000000090CC: D1D3001D 04764722
	v_max3_f32 v29, v36, v37, v29                              // 0000000090D4: D1D3001D 04764B24
	v_max3_f32 v29, v38, v39, v29                              // 0000000090DC: D1D3001D 04764F26
	v_max3_f32 v29, v40, v41, v29                              // 0000000090E4: D1D3001D 04765328
	v_mov_b32_e32 v28, v29                                     // 0000000090EC: 7E38031D
	v_mov_b32_e32 v29, v29                                     // 0000000090F0: 7E3A031D
	s_nop 1                                                    // 0000000090F4: BF800001
	v_permlane16_swap_b32_e32 v28, v29                         // 0000000090F8: 7E38B31D
	v_mov_b32_e32 v31, v28                                     // 0000000090FC: 7E3E031C
	v_mov_b32_e32 v30, v29                                     // 000000009100: 7E3C031D
	s_nop 1                                                    // 000000009104: BF800001
	v_permlane32_swap_b32_e32 v28, v29                         // 000000009108: 7E38B51D
	v_permlane32_swap_b32_e32 v30, v31                         // 00000000910C: 7E3CB51F
	v_max3_f32 v29, v28, v29, v29                              // 000000009110: D1D3001D 04763B1C
	v_max3_f32 v29, v30, v31, v29                              // 000000009118: D1D3001D 04763F1E
	v_mov_b32_e32 v28, 0xff800000                              // 000000009120: 7E3802FF FF800000
	v_cmp_eq_u32_e64 s[36:37], v28, v2                         // 000000009128: D0CA0024 0002051C
	v_max_f32_e32 v29, v29, v2                                 // 000000009130: 163A051D
	v_sub_f32_e32 v16, v2, v29                                 // 000000009134: 04203B02
	v_cndmask_b32_e64 v16, v16, 0, s[36:37]                    // 000000009138: D1000010 00910110
	v_mov_b32_e32 v2, v29                                      // 000000009140: 7E04031D
	v_mul_f32_e32 v29, s5, v29                                 // 000000009144: 0A3A3A05
	v_mul_f32_e32 v16, s5, v16                                 // 000000009148: 0A202005
	v_exp_f32_e32 v16, v16                                     // 00000000914C: 7E204110
	v_fma_f32 v34, v34, s5, -v29                               // 000000009150: D1CB0022 84740B22
	v_fma_f32 v35, v35, s5, -v29                               // 000000009158: D1CB0023 84740B23
	v_fma_f32 v36, v36, s5, -v29                               // 000000009160: D1CB0024 84740B24
	v_fma_f32 v37, v37, s5, -v29                               // 000000009168: D1CB0025 84740B25
	v_fma_f32 v38, v38, s5, -v29                               // 000000009170: D1CB0026 84740B26
	v_fma_f32 v39, v39, s5, -v29                               // 000000009178: D1CB0027 84740B27
	v_fma_f32 v40, v40, s5, -v29                               // 000000009180: D1CB0028 84740B28
	v_fma_f32 v41, v41, s5, -v29                               // 000000009188: D1CB0029 84740B29
	v_exp_f32_e32 v34, v34                                     // 000000009190: 7E444122
	v_exp_f32_e32 v35, v35                                     // 000000009194: 7E464123
	v_exp_f32_e32 v36, v36                                     // 000000009198: 7E484124
	v_exp_f32_e32 v37, v37                                     // 00000000919C: 7E4A4125
	v_exp_f32_e32 v38, v38                                     // 0000000091A0: 7E4C4126
	v_exp_f32_e32 v39, v39                                     // 0000000091A4: 7E4E4127
	v_exp_f32_e32 v40, v40                                     // 0000000091A8: 7E504128
	v_exp_f32_e32 v41, v41                                     // 0000000091AC: 7E524129
	v_mul_f32_e32 v4, v16, v4                                  // 0000000091B0: 0A080910
	v_mov_b32_e32 v28, v34                                     // 0000000091B4: 7E380322
	v_add_f32_e32 v28, v35, v28                                // 0000000091B8: 02383923
	v_add_f32_e32 v28, v36, v28                                // 0000000091BC: 02383924
	v_add_f32_e32 v28, v37, v28                                // 0000000091C0: 02383925
	v_add_f32_e32 v28, v38, v28                                // 0000000091C4: 02383926
	v_add_f32_e32 v28, v39, v28                                // 0000000091C8: 02383927
	v_add_f32_e32 v28, v40, v28                                // 0000000091CC: 02383928
	v_add_f32_e32 v28, v41, v28                                // 0000000091D0: 02383929
	v_add_f32_e32 v4, v28, v4                                  // 0000000091D4: 0208091C
	v_cvt_pk_bf16_f32 v34, v34, v35                            // 0000000091D8: D2680022 00024722
	v_cvt_pk_bf16_f32 v35, v36, v37                            // 0000000091E0: D2680023 00024B24
	v_cvt_pk_bf16_f32 v36, v38, v39                            // 0000000091E8: D2680024 00024F26
	v_cvt_pk_bf16_f32 v37, v40, v41                            // 0000000091F0: D2680025 00025328
	s_nop 0                                                    // 0000000091F8: BF800000
	v_permlane32_swap_b32_e32 v34, v36                         // 0000000091FC: 7E44B524
	v_permlane32_swap_b32_e32 v35, v37                         // 000000009200: 7E46B525
	s_nop 0                                                    // 000000009204: BF800000
	v_permlane16_swap_b32_e32 v34, v36                         // 000000009208: 7E44B324
	v_permlane16_swap_b32_e32 v35, v37                         // 00000000920C: 7E46B325
	s_waitcnt lgkmcnt(4)                                       // 000000009210: BF8CC47F
	v_mfma_f32_16x16x32_bf16 v[50:53], a[144:147], v[42:45], v[50:53]// 000000009214: D3B50032 0CCA5590
	v_mfma_f32_16x16x32_bf16 v[54:57], a[148:151], v[42:45], v[54:57]// 00000000921C: D3B50036 0CDA5594
	v_mfma_f32_16x16x32_bf16 v[58:61], a[152:155], v[42:45], v[58:61]// 000000009224: D3B5003A 0CEA5598
	v_mfma_f32_16x16x32_bf16 v[62:65], a[156:159], v[42:45], v[62:65]// 00000000922C: D3B5003E 0CFA559C
	v_mfma_f32_16x16x32_bf16 v[66:69], a[160:163], v[42:45], v[66:69]// 000000009234: D3B50042 0D0A55A0
	v_mfma_f32_16x16x32_bf16 v[70:73], a[164:167], v[42:45], v[70:73]// 00000000923C: D3B50046 0D1A55A4
	v_mfma_f32_16x16x32_bf16 v[74:77], a[168:171], v[42:45], v[74:77]// 000000009244: D3B5004A 0D2A55A8
	v_mfma_f32_16x16x32_bf16 v[78:81], a[172:175], v[42:45], v[78:81]// 00000000924C: D3B5004E 0D3A55AC
	v_mfma_f32_16x16x32_bf16 v[82:85], a[176:179], v[42:45], v[82:85]// 000000009254: D3B50052 0D4A55B0
	v_mfma_f32_16x16x32_bf16 v[86:89], a[180:183], v[42:45], v[86:89]// 00000000925C: D3B50056 0D5A55B4
	v_mfma_f32_16x16x32_bf16 v[90:93], a[184:187], v[42:45], v[90:93]// 000000009264: D3B5005A 0D6A55B8
	v_mfma_f32_16x16x32_bf16 v[94:97], a[188:191], v[42:45], v[94:97]// 00000000926C: D3B5005E 0D7A55BC
	v_mfma_f32_16x16x32_bf16 v[98:101], a[192:195], v[42:45], v[98:101]// 000000009274: D3B50062 0D8A55C0
	v_mfma_f32_16x16x32_bf16 v[102:105], a[196:199], v[42:45], v[102:105]// 00000000927C: D3B50066 0D9A55C4
	v_mfma_f32_16x16x32_bf16 v[106:109], a[200:203], v[42:45], v[106:109]// 000000009284: D3B5006A 0DAA55C8
	v_mfma_f32_16x16x32_bf16 v[110:113], a[204:207], v[42:45], v[110:113]// 00000000928C: D3B5006E 0DBA55CC
	ds_read_b64_tr_b16 a[144:145], v14 offset:8192             // 000000009294: DBC62000 9000000E
	ds_read_b64_tr_b16 a[146:147], v14 offset:8448             // 00000000929C: DBC62100 9200000E
	ds_read_b64_tr_b16 a[148:149], v15 offset:8192             // 0000000092A4: DBC62000 9400000F
	ds_read_b64_tr_b16 a[150:151], v15 offset:8448             // 0000000092AC: DBC62100 9600000F
	ds_read_b64_tr_b16 a[152:153], v14 offset:9216             // 0000000092B4: DBC62400 9800000E
	ds_read_b64_tr_b16 a[154:155], v14 offset:9472             // 0000000092BC: DBC62500 9A00000E
	ds_read_b64_tr_b16 a[156:157], v15 offset:9216             // 0000000092C4: DBC62400 9C00000F
	ds_read_b64_tr_b16 a[158:159], v15 offset:9472             // 0000000092CC: DBC62500 9E00000F
	ds_read_b64_tr_b16 a[160:161], v14 offset:10240            // 0000000092D4: DBC62800 A000000E
	ds_read_b64_tr_b16 a[162:163], v14 offset:10496            // 0000000092DC: DBC62900 A200000E
	ds_read_b64_tr_b16 a[164:165], v15 offset:10240            // 0000000092E4: DBC62800 A400000F
	ds_read_b64_tr_b16 a[166:167], v15 offset:10496            // 0000000092EC: DBC62900 A600000F
	ds_read_b64_tr_b16 a[168:169], v14 offset:11264            // 0000000092F4: DBC62C00 A800000E
	ds_read_b64_tr_b16 a[170:171], v14 offset:11520            // 0000000092FC: DBC62D00 AA00000E
	ds_read_b64_tr_b16 a[172:173], v15 offset:11264            // 000000009304: DBC62C00 AC00000F
	ds_read_b64_tr_b16 a[174:175], v15 offset:11520            // 00000000930C: DBC62D00 AE00000F
	ds_read_b64_tr_b16 a[176:177], v14 offset:12288            // 000000009314: DBC63000 B000000E
	ds_read_b64_tr_b16 a[178:179], v14 offset:12544            // 00000000931C: DBC63100 B200000E
	ds_read_b64_tr_b16 a[180:181], v15 offset:12288            // 000000009324: DBC63000 B400000F
	ds_read_b64_tr_b16 a[182:183], v15 offset:12544            // 00000000932C: DBC63100 B600000F
	ds_read_b64_tr_b16 a[184:185], v14 offset:13312            // 000000009334: DBC63400 B800000E
	ds_read_b64_tr_b16 a[186:187], v14 offset:13568            // 00000000933C: DBC63500 BA00000E
	ds_read_b64_tr_b16 a[188:189], v15 offset:13312            // 000000009344: DBC63400 BC00000F
	ds_read_b64_tr_b16 a[190:191], v15 offset:13568            // 00000000934C: DBC63500 BE00000F
	ds_read_b64_tr_b16 a[192:193], v14 offset:14336            // 000000009354: DBC63800 C000000E
	ds_read_b64_tr_b16 a[194:195], v14 offset:14592            // 00000000935C: DBC63900 C200000E
	ds_read_b64_tr_b16 a[196:197], v15 offset:14336            // 000000009364: DBC63800 C400000F
	ds_read_b64_tr_b16 a[198:199], v15 offset:14592            // 00000000936C: DBC63900 C600000F
	ds_read_b64_tr_b16 a[200:201], v14 offset:15360            // 000000009374: DBC63C00 C800000E
	ds_read_b64_tr_b16 a[202:203], v14 offset:15616            // 00000000937C: DBC63D00 CA00000E
	ds_read_b64_tr_b16 a[204:205], v15 offset:15360            // 000000009384: DBC63C00 CC00000F
	ds_read_b64_tr_b16 a[206:207], v15 offset:15616            // 00000000938C: DBC63D00 CE00000F
	s_waitcnt lgkmcnt(0)                                       // 000000009394: BF8CC07F
	v_mfma_f32_16x16x32_bf16 v[114:117], a[144:147], v[42:45], v[114:117]// 000000009398: D3B50072 0DCA5590
	v_mfma_f32_16x16x32_bf16 v[118:121], a[148:151], v[42:45], v[118:121]// 0000000093A0: D3B50076 0DDA5594
	v_mfma_f32_16x16x32_bf16 v[122:125], a[152:155], v[42:45], v[122:125]// 0000000093A8: D3B5007A 0DEA5598
	v_mfma_f32_16x16x32_bf16 v[126:129], a[156:159], v[42:45], v[126:129]// 0000000093B0: D3B5007E 0DFA559C
	v_mfma_f32_16x16x32_bf16 v[130:133], a[160:163], v[42:45], v[130:133]// 0000000093B8: D3B50082 0E0A55A0
	v_mfma_f32_16x16x32_bf16 v[134:137], a[164:167], v[42:45], v[134:137]// 0000000093C0: D3B50086 0E1A55A4
	v_mfma_f32_16x16x32_bf16 v[138:141], a[168:171], v[42:45], v[138:141]// 0000000093C8: D3B5008A 0E2A55A8
	v_mfma_f32_16x16x32_bf16 v[142:145], a[172:175], v[42:45], v[142:145]// 0000000093D0: D3B5008E 0E3A55AC
	v_mfma_f32_16x16x32_bf16 v[146:149], a[176:179], v[42:45], v[146:149]// 0000000093D8: D3B50092 0E4A55B0
	v_mfma_f32_16x16x32_bf16 v[150:153], a[180:183], v[42:45], v[150:153]// 0000000093E0: D3B50096 0E5A55B4
	v_mfma_f32_16x16x32_bf16 v[154:157], a[184:187], v[42:45], v[154:157]// 0000000093E8: D3B5009A 0E6A55B8
	v_mfma_f32_16x16x32_bf16 v[158:161], a[188:191], v[42:45], v[158:161]// 0000000093F0: D3B5009E 0E7A55BC
	v_mfma_f32_16x16x32_bf16 v[162:165], a[192:195], v[42:45], v[162:165]// 0000000093F8: D3B500A2 0E8A55C0
	v_mfma_f32_16x16x32_bf16 v[166:169], a[196:199], v[42:45], v[166:169]// 000000009400: D3B500A6 0E9A55C4
	v_mfma_f32_16x16x32_bf16 v[170:173], a[200:203], v[42:45], v[170:173]// 000000009408: D3B500AA 0EAA55C8
	v_mfma_f32_16x16x32_bf16 v[174:177], a[204:207], v[42:45], v[174:177]// 000000009410: D3B500AE 0EBA55CC
	ds_read_b64_tr_b16 a[144:145], v8                          // 000000009418: DBC60000 90000008
	ds_read_b64_tr_b16 a[146:147], v8 offset:256               // 000000009420: DBC60100 92000008
	ds_read_b64_tr_b16 a[148:149], v9                          // 000000009428: DBC60000 94000009
	ds_read_b64_tr_b16 a[150:151], v9 offset:256               // 000000009430: DBC60100 96000009
	ds_read_b64_tr_b16 a[152:153], v8 offset:1024              // 000000009438: DBC60400 98000008
	ds_read_b64_tr_b16 a[154:155], v8 offset:1280              // 000000009440: DBC60500 9A000008
	ds_read_b64_tr_b16 a[156:157], v9 offset:1024              // 000000009448: DBC60400 9C000009
	ds_read_b64_tr_b16 a[158:159], v9 offset:1280              // 000000009450: DBC60500 9E000009
	ds_read_b64_tr_b16 a[160:161], v8 offset:2048              // 000000009458: DBC60800 A0000008
	ds_read_b64_tr_b16 a[162:163], v8 offset:2304              // 000000009460: DBC60900 A2000008
	ds_read_b64_tr_b16 a[164:165], v9 offset:2048              // 000000009468: DBC60800 A4000009
	ds_read_b64_tr_b16 a[166:167], v9 offset:2304              // 000000009470: DBC60900 A6000009
	ds_read_b64_tr_b16 a[168:169], v8 offset:3072              // 000000009478: DBC60C00 A8000008
	ds_read_b64_tr_b16 a[170:171], v8 offset:3328              // 000000009480: DBC60D00 AA000008
	ds_read_b64_tr_b16 a[172:173], v9 offset:3072              // 000000009488: DBC60C00 AC000009
	ds_read_b64_tr_b16 a[174:175], v9 offset:3328              // 000000009490: DBC60D00 AE000009
	ds_read_b64_tr_b16 a[176:177], v8 offset:4096              // 000000009498: DBC61000 B0000008
	ds_read_b64_tr_b16 a[178:179], v8 offset:4352              // 0000000094A0: DBC61100 B2000008
	ds_read_b64_tr_b16 a[180:181], v9 offset:4096              // 0000000094A8: DBC61000 B4000009
	ds_read_b64_tr_b16 a[182:183], v9 offset:4352              // 0000000094B0: DBC61100 B6000009
	ds_read_b64_tr_b16 a[184:185], v8 offset:5120              // 0000000094B8: DBC61400 B8000008
	ds_read_b64_tr_b16 a[186:187], v8 offset:5376              // 0000000094C0: DBC61500 BA000008
	ds_read_b64_tr_b16 a[188:189], v9 offset:5120              // 0000000094C8: DBC61400 BC000009
	ds_read_b64_tr_b16 a[190:191], v9 offset:5376              // 0000000094D0: DBC61500 BE000009
	ds_read_b64_tr_b16 a[192:193], v8 offset:6144              // 0000000094D8: DBC61800 C0000008
	ds_read_b64_tr_b16 a[194:195], v8 offset:6400              // 0000000094E0: DBC61900 C2000008
	ds_read_b64_tr_b16 a[196:197], v9 offset:6144              // 0000000094E8: DBC61800 C4000009
	ds_read_b64_tr_b16 a[198:199], v9 offset:6400              // 0000000094F0: DBC61900 C6000009
	ds_read_b64_tr_b16 a[200:201], v8 offset:7168              // 0000000094F8: DBC61C00 C8000008
	ds_read_b64_tr_b16 a[202:203], v8 offset:7424              // 000000009500: DBC61D00 CA000008
	ds_read_b64_tr_b16 a[204:205], v9 offset:7168              // 000000009508: DBC61C00 CC000009
	ds_read_b64_tr_b16 a[206:207], v9 offset:7424              // 000000009510: DBC61D00 CE000009
	v_mov_b32_e32 v30, v16                                     // 000000009518: 7E3C0310
	v_mov_b32_e32 v31, v16                                     // 00000000951C: 7E3E0310
	v_pk_mul_f32 v[50:51], v[30:31], v[50:51]                  // 000000009520: D3B14032 1802651E
	v_pk_mul_f32 v[52:53], v[30:31], v[52:53]                  // 000000009528: D3B14034 1802691E
	v_pk_mul_f32 v[54:55], v[30:31], v[54:55]                  // 000000009530: D3B14036 18026D1E
	v_pk_mul_f32 v[56:57], v[30:31], v[56:57]                  // 000000009538: D3B14038 1802711E
	v_pk_mul_f32 v[58:59], v[30:31], v[58:59]                  // 000000009540: D3B1403A 1802751E
	v_pk_mul_f32 v[60:61], v[30:31], v[60:61]                  // 000000009548: D3B1403C 1802791E
	v_pk_mul_f32 v[62:63], v[30:31], v[62:63]                  // 000000009550: D3B1403E 18027D1E
	v_pk_mul_f32 v[64:65], v[30:31], v[64:65]                  // 000000009558: D3B14040 1802811E
	v_pk_mul_f32 v[66:67], v[30:31], v[66:67]                  // 000000009560: D3B14042 1802851E
	v_pk_mul_f32 v[68:69], v[30:31], v[68:69]                  // 000000009568: D3B14044 1802891E
	v_pk_mul_f32 v[70:71], v[30:31], v[70:71]                  // 000000009570: D3B14046 18028D1E
	v_pk_mul_f32 v[72:73], v[30:31], v[72:73]                  // 000000009578: D3B14048 1802911E
	v_pk_mul_f32 v[74:75], v[30:31], v[74:75]                  // 000000009580: D3B1404A 1802951E
	v_pk_mul_f32 v[76:77], v[30:31], v[76:77]                  // 000000009588: D3B1404C 1802991E
	v_pk_mul_f32 v[78:79], v[30:31], v[78:79]                  // 000000009590: D3B1404E 18029D1E
	v_pk_mul_f32 v[80:81], v[30:31], v[80:81]                  // 000000009598: D3B14050 1802A11E
	v_pk_mul_f32 v[82:83], v[30:31], v[82:83]                  // 0000000095A0: D3B14052 1802A51E
	v_pk_mul_f32 v[84:85], v[30:31], v[84:85]                  // 0000000095A8: D3B14054 1802A91E
	v_pk_mul_f32 v[86:87], v[30:31], v[86:87]                  // 0000000095B0: D3B14056 1802AD1E
	v_pk_mul_f32 v[88:89], v[30:31], v[88:89]                  // 0000000095B8: D3B14058 1802B11E
	v_pk_mul_f32 v[90:91], v[30:31], v[90:91]                  // 0000000095C0: D3B1405A 1802B51E
	v_pk_mul_f32 v[92:93], v[30:31], v[92:93]                  // 0000000095C8: D3B1405C 1802B91E
	v_pk_mul_f32 v[94:95], v[30:31], v[94:95]                  // 0000000095D0: D3B1405E 1802BD1E
	v_pk_mul_f32 v[96:97], v[30:31], v[96:97]                  // 0000000095D8: D3B14060 1802C11E
	v_pk_mul_f32 v[98:99], v[30:31], v[98:99]                  // 0000000095E0: D3B14062 1802C51E
	v_pk_mul_f32 v[100:101], v[30:31], v[100:101]              // 0000000095E8: D3B14064 1802C91E
	v_pk_mul_f32 v[102:103], v[30:31], v[102:103]              // 0000000095F0: D3B14066 1802CD1E
	v_pk_mul_f32 v[104:105], v[30:31], v[104:105]              // 0000000095F8: D3B14068 1802D11E
	v_pk_mul_f32 v[106:107], v[30:31], v[106:107]              // 000000009600: D3B1406A 1802D51E
	v_pk_mul_f32 v[108:109], v[30:31], v[108:109]              // 000000009608: D3B1406C 1802D91E
	v_pk_mul_f32 v[110:111], v[30:31], v[110:111]              // 000000009610: D3B1406E 1802DD1E
	v_pk_mul_f32 v[112:113], v[30:31], v[112:113]              // 000000009618: D3B14070 1802E11E
	v_pk_mul_f32 v[114:115], v[30:31], v[114:115]              // 000000009620: D3B14072 1802E51E
	v_pk_mul_f32 v[116:117], v[30:31], v[116:117]              // 000000009628: D3B14074 1802E91E
	v_pk_mul_f32 v[118:119], v[30:31], v[118:119]              // 000000009630: D3B14076 1802ED1E
	v_pk_mul_f32 v[120:121], v[30:31], v[120:121]              // 000000009638: D3B14078 1802F11E
	v_pk_mul_f32 v[122:123], v[30:31], v[122:123]              // 000000009640: D3B1407A 1802F51E
	v_pk_mul_f32 v[124:125], v[30:31], v[124:125]              // 000000009648: D3B1407C 1802F91E
	v_pk_mul_f32 v[126:127], v[30:31], v[126:127]              // 000000009650: D3B1407E 1802FD1E
	v_pk_mul_f32 v[128:129], v[30:31], v[128:129]              // 000000009658: D3B14080 1803011E
	v_pk_mul_f32 v[130:131], v[30:31], v[130:131]              // 000000009660: D3B14082 1803051E
	v_pk_mul_f32 v[132:133], v[30:31], v[132:133]              // 000000009668: D3B14084 1803091E
	v_pk_mul_f32 v[134:135], v[30:31], v[134:135]              // 000000009670: D3B14086 18030D1E
	v_pk_mul_f32 v[136:137], v[30:31], v[136:137]              // 000000009678: D3B14088 1803111E
	v_pk_mul_f32 v[138:139], v[30:31], v[138:139]              // 000000009680: D3B1408A 1803151E
	v_pk_mul_f32 v[140:141], v[30:31], v[140:141]              // 000000009688: D3B1408C 1803191E
	v_pk_mul_f32 v[142:143], v[30:31], v[142:143]              // 000000009690: D3B1408E 18031D1E
	v_pk_mul_f32 v[144:145], v[30:31], v[144:145]              // 000000009698: D3B14090 1803211E
	v_pk_mul_f32 v[146:147], v[30:31], v[146:147]              // 0000000096A0: D3B14092 1803251E
	v_pk_mul_f32 v[148:149], v[30:31], v[148:149]              // 0000000096A8: D3B14094 1803291E
	v_pk_mul_f32 v[150:151], v[30:31], v[150:151]              // 0000000096B0: D3B14096 18032D1E
	v_pk_mul_f32 v[152:153], v[30:31], v[152:153]              // 0000000096B8: D3B14098 1803311E
	v_pk_mul_f32 v[154:155], v[30:31], v[154:155]              // 0000000096C0: D3B1409A 1803351E
	v_pk_mul_f32 v[156:157], v[30:31], v[156:157]              // 0000000096C8: D3B1409C 1803391E
	v_pk_mul_f32 v[158:159], v[30:31], v[158:159]              // 0000000096D0: D3B1409E 18033D1E
	v_pk_mul_f32 v[160:161], v[30:31], v[160:161]              // 0000000096D8: D3B140A0 1803411E
	v_pk_mul_f32 v[162:163], v[30:31], v[162:163]              // 0000000096E0: D3B140A2 1803451E
	v_pk_mul_f32 v[164:165], v[30:31], v[164:165]              // 0000000096E8: D3B140A4 1803491E
	v_pk_mul_f32 v[166:167], v[30:31], v[166:167]              // 0000000096F0: D3B140A6 18034D1E
	v_pk_mul_f32 v[168:169], v[30:31], v[168:169]              // 0000000096F8: D3B140A8 1803511E
	v_pk_mul_f32 v[170:171], v[30:31], v[170:171]              // 000000009700: D3B140AA 1803551E
	v_pk_mul_f32 v[172:173], v[30:31], v[172:173]              // 000000009708: D3B140AC 1803591E
	v_pk_mul_f32 v[174:175], v[30:31], v[174:175]              // 000000009710: D3B140AE 18035D1E
	v_pk_mul_f32 v[176:177], v[30:31], v[176:177]              // 000000009718: D3B140B0 1803611E
	s_waitcnt lgkmcnt(4)                                       // 000000009720: BF8CC47F
	v_mfma_f32_16x16x32_bf16 v[50:53], a[144:147], v[34:37], v[50:53]// 000000009724: D3B50032 0CCA4590
	v_mfma_f32_16x16x32_bf16 v[54:57], a[148:151], v[34:37], v[54:57]// 00000000972C: D3B50036 0CDA4594
	v_mfma_f32_16x16x32_bf16 v[58:61], a[152:155], v[34:37], v[58:61]// 000000009734: D3B5003A 0CEA4598
	v_mfma_f32_16x16x32_bf16 v[62:65], a[156:159], v[34:37], v[62:65]// 00000000973C: D3B5003E 0CFA459C
	v_mfma_f32_16x16x32_bf16 v[66:69], a[160:163], v[34:37], v[66:69]// 000000009744: D3B50042 0D0A45A0
	v_mfma_f32_16x16x32_bf16 v[70:73], a[164:167], v[34:37], v[70:73]// 00000000974C: D3B50046 0D1A45A4
	v_mfma_f32_16x16x32_bf16 v[74:77], a[168:171], v[34:37], v[74:77]// 000000009754: D3B5004A 0D2A45A8
	v_mfma_f32_16x16x32_bf16 v[78:81], a[172:175], v[34:37], v[78:81]// 00000000975C: D3B5004E 0D3A45AC
	v_mfma_f32_16x16x32_bf16 v[82:85], a[176:179], v[34:37], v[82:85]// 000000009764: D3B50052 0D4A45B0
	v_mfma_f32_16x16x32_bf16 v[86:89], a[180:183], v[34:37], v[86:89]// 00000000976C: D3B50056 0D5A45B4
	v_mfma_f32_16x16x32_bf16 v[90:93], a[184:187], v[34:37], v[90:93]// 000000009774: D3B5005A 0D6A45B8
	v_mfma_f32_16x16x32_bf16 v[94:97], a[188:191], v[34:37], v[94:97]// 00000000977C: D3B5005E 0D7A45BC
	v_mfma_f32_16x16x32_bf16 v[98:101], a[192:195], v[34:37], v[98:101]// 000000009784: D3B50062 0D8A45C0
	v_mfma_f32_16x16x32_bf16 v[102:105], a[196:199], v[34:37], v[102:105]// 00000000978C: D3B50066 0D9A45C4
	v_mfma_f32_16x16x32_bf16 v[106:109], a[200:203], v[34:37], v[106:109]// 000000009794: D3B5006A 0DAA45C8
	v_mfma_f32_16x16x32_bf16 v[110:113], a[204:207], v[34:37], v[110:113]// 00000000979C: D3B5006E 0DBA45CC
	ds_read_b64_tr_b16 a[144:145], v8 offset:8192              // 0000000097A4: DBC62000 90000008
	ds_read_b64_tr_b16 a[146:147], v8 offset:8448              // 0000000097AC: DBC62100 92000008
	ds_read_b64_tr_b16 a[148:149], v9 offset:8192              // 0000000097B4: DBC62000 94000009
	ds_read_b64_tr_b16 a[150:151], v9 offset:8448              // 0000000097BC: DBC62100 96000009
	ds_read_b64_tr_b16 a[152:153], v8 offset:9216              // 0000000097C4: DBC62400 98000008
	ds_read_b64_tr_b16 a[154:155], v8 offset:9472              // 0000000097CC: DBC62500 9A000008
	ds_read_b64_tr_b16 a[156:157], v9 offset:9216              // 0000000097D4: DBC62400 9C000009
	ds_read_b64_tr_b16 a[158:159], v9 offset:9472              // 0000000097DC: DBC62500 9E000009
	ds_read_b64_tr_b16 a[160:161], v8 offset:10240             // 0000000097E4: DBC62800 A0000008
	ds_read_b64_tr_b16 a[162:163], v8 offset:10496             // 0000000097EC: DBC62900 A2000008
	ds_read_b64_tr_b16 a[164:165], v9 offset:10240             // 0000000097F4: DBC62800 A4000009
	ds_read_b64_tr_b16 a[166:167], v9 offset:10496             // 0000000097FC: DBC62900 A6000009
	ds_read_b64_tr_b16 a[168:169], v8 offset:11264             // 000000009804: DBC62C00 A8000008
	ds_read_b64_tr_b16 a[170:171], v8 offset:11520             // 00000000980C: DBC62D00 AA000008
	ds_read_b64_tr_b16 a[172:173], v9 offset:11264             // 000000009814: DBC62C00 AC000009
	ds_read_b64_tr_b16 a[174:175], v9 offset:11520             // 00000000981C: DBC62D00 AE000009
	ds_read_b64_tr_b16 a[176:177], v8 offset:12288             // 000000009824: DBC63000 B0000008
	ds_read_b64_tr_b16 a[178:179], v8 offset:12544             // 00000000982C: DBC63100 B2000008
	ds_read_b64_tr_b16 a[180:181], v9 offset:12288             // 000000009834: DBC63000 B4000009
	ds_read_b64_tr_b16 a[182:183], v9 offset:12544             // 00000000983C: DBC63100 B6000009
	ds_read_b64_tr_b16 a[184:185], v8 offset:13312             // 000000009844: DBC63400 B8000008
	ds_read_b64_tr_b16 a[186:187], v8 offset:13568             // 00000000984C: DBC63500 BA000008
	ds_read_b64_tr_b16 a[188:189], v9 offset:13312             // 000000009854: DBC63400 BC000009
	ds_read_b64_tr_b16 a[190:191], v9 offset:13568             // 00000000985C: DBC63500 BE000009
	ds_read_b64_tr_b16 a[192:193], v8 offset:14336             // 000000009864: DBC63800 C0000008
	ds_read_b64_tr_b16 a[194:195], v8 offset:14592             // 00000000986C: DBC63900 C2000008
	ds_read_b64_tr_b16 a[196:197], v9 offset:14336             // 000000009874: DBC63800 C4000009
	ds_read_b64_tr_b16 a[198:199], v9 offset:14592             // 00000000987C: DBC63900 C6000009
	ds_read_b64_tr_b16 a[200:201], v8 offset:15360             // 000000009884: DBC63C00 C8000008
	ds_read_b64_tr_b16 a[202:203], v8 offset:15616             // 00000000988C: DBC63D00 CA000008
	ds_read_b64_tr_b16 a[204:205], v9 offset:15360             // 000000009894: DBC63C00 CC000009
	ds_read_b64_tr_b16 a[206:207], v9 offset:15616             // 00000000989C: DBC63D00 CE000009
	s_waitcnt vmcnt(0)                                         // 0000000098A4: BF8C0F70
	s_barrier                                                  // 0000000098A8: BF8A0000
	s_waitcnt lgkmcnt(0)                                       // 0000000098AC: BF8CC07F
	v_mfma_f32_16x16x32_bf16 v[114:117], a[144:147], v[34:37], v[114:117]// 0000000098B0: D3B50072 0DCA4590
	ds_read_b128 a[72:75], v19                                 // 0000000098B8: DBFE0000 48000013
	ds_read_b128 a[76:79], v19 offset:1024                     // 0000000098C0: DBFE0400 4C000013
	v_mfma_f32_16x16x32_bf16 v[118:121], a[148:151], v[34:37], v[118:121]// 0000000098C8: D3B50076 0DDA4594
	ds_read_b128 a[80:83], v19 offset:2048                     // 0000000098D0: DBFE0800 50000013
	ds_read_b128 a[84:87], v19 offset:3072                     // 0000000098D8: DBFE0C00 54000013
	v_mfma_f32_16x16x32_bf16 v[122:125], a[152:155], v[34:37], v[122:125]// 0000000098E0: D3B5007A 0DEA4598
	ds_read_b128 a[88:91], v19 offset:4096                     // 0000000098E8: DBFE1000 58000013
	ds_read_b128 a[92:95], v19 offset:5120                     // 0000000098F0: DBFE1400 5C000013
	v_mfma_f32_16x16x32_bf16 v[126:129], a[156:159], v[34:37], v[126:129]// 0000000098F8: D3B5007E 0DFA459C
	ds_read_b128 a[96:99], v19 offset:6144                     // 000000009900: DBFE1800 60000013
	ds_read_b128 a[100:103], v19 offset:7168                   // 000000009908: DBFE1C00 64000013
	v_mfma_f32_16x16x32_bf16 v[130:133], a[160:163], v[34:37], v[130:133]// 000000009910: D3B50082 0E0A45A0
	ds_read_b128 a[104:107], v19 offset:8192                   // 000000009918: DBFE2000 68000013
	ds_read_b128 a[108:111], v19 offset:9216                   // 000000009920: DBFE2400 6C000013
	v_mfma_f32_16x16x32_bf16 v[134:137], a[164:167], v[34:37], v[134:137]// 000000009928: D3B50086 0E1A45A4
	ds_read_b128 a[112:115], v19 offset:10240                  // 000000009930: DBFE2800 70000013
	ds_read_b128 a[116:119], v19 offset:11264                  // 000000009938: DBFE2C00 74000013
	v_mfma_f32_16x16x32_bf16 v[138:141], a[168:171], v[34:37], v[138:141]// 000000009940: D3B5008A 0E2A45A8
	ds_read_b128 a[120:123], v19 offset:12288                  // 000000009948: DBFE3000 78000013
	ds_read_b128 a[124:127], v19 offset:13312                  // 000000009950: DBFE3400 7C000013
	v_mfma_f32_16x16x32_bf16 v[142:145], a[172:175], v[34:37], v[142:145]// 000000009958: D3B5008E 0E3A45AC
	ds_read_b128 a[128:131], v19 offset:14336                  // 000000009960: DBFE3800 80000013
	ds_read_b128 a[132:135], v19 offset:15360                  // 000000009968: DBFE3C00 84000013
	v_mfma_f32_16x16x32_bf16 v[146:149], a[176:179], v[34:37], v[146:149]// 000000009970: D3B50092 0E4A45B0
	ds_read_b128 a[136:139], v19 offset:16384                  // 000000009978: DBFE4000 88000013
	ds_read_b128 a[140:143], v19 offset:17408                  // 000000009980: DBFE4400 8C000013
	v_mfma_f32_16x16x32_bf16 v[150:153], a[180:183], v[34:37], v[150:153]// 000000009988: D3B50096 0E5A45B4
	v_mfma_f32_16x16x32_bf16 v[154:157], a[184:187], v[34:37], v[154:157]// 000000009990: D3B5009A 0E6A45B8
	v_mfma_f32_16x16x32_bf16 v[158:161], a[188:191], v[34:37], v[158:161]// 000000009998: D3B5009E 0E7A45BC
	v_mfma_f32_16x16x32_bf16 v[162:165], a[192:195], v[34:37], v[162:165]// 0000000099A0: D3B500A2 0E8A45C0
	v_mfma_f32_16x16x32_bf16 v[166:169], a[196:199], v[34:37], v[166:169]// 0000000099A8: D3B500A6 0E9A45C4
	v_mfma_f32_16x16x32_bf16 v[170:173], a[200:203], v[34:37], v[170:173]// 0000000099B0: D3B500AA 0EAA45C8
	v_mfma_f32_16x16x32_bf16 v[174:177], a[204:207], v[34:37], v[174:177]// 0000000099B8: D3B500AE 0EBA45CC
	s_branch label_86C4                                        // 0000000099C0: BF820480

00000000000099c4 <label_74C4>:
	s_nop 2                                                    // 0000000099C4: BF800002
	v_mov_b32_e32 v29, v42                                     // 0000000099C8: 7E3A032A
	v_max3_f32 v29, v42, v43, v29                              // 0000000099CC: D1D3001D 0476572A
	v_max3_f32 v29, v44, v45, v29                              // 0000000099D4: D1D3001D 04765B2C
	v_max3_f32 v29, v46, v47, v29                              // 0000000099DC: D1D3001D 04765F2E
	v_max3_f32 v29, v48, v49, v29                              // 0000000099E4: D1D3001D 04766330
	v_mov_b32_e32 v28, v29                                     // 0000000099EC: 7E38031D
	v_mov_b32_e32 v29, v29                                     // 0000000099F0: 7E3A031D
	s_nop 1                                                    // 0000000099F4: BF800001
	v_permlane16_swap_b32_e32 v28, v29                         // 0000000099F8: 7E38B31D
	v_mov_b32_e32 v31, v28                                     // 0000000099FC: 7E3E031C
	v_mov_b32_e32 v30, v29                                     // 000000009A00: 7E3C031D
	s_nop 1                                                    // 000000009A04: BF800001
	v_permlane32_swap_b32_e32 v28, v29                         // 000000009A08: 7E38B51D
	v_permlane32_swap_b32_e32 v30, v31                         // 000000009A0C: 7E3CB51F
	v_max3_f32 v29, v28, v29, v29                              // 000000009A10: D1D3001D 04763B1C
	v_max3_f32 v29, v30, v31, v29                              // 000000009A18: D1D3001D 04763F1E
	v_mov_b32_e32 v28, 0xff800000                              // 000000009A20: 7E3802FF FF800000
	v_cmp_eq_u32_e64 s[36:37], v28, v2                         // 000000009A28: D0CA0024 0002051C
	v_max_f32_e32 v29, v29, v2                                 // 000000009A30: 163A051D
	v_sub_f32_e32 v16, v2, v29                                 // 000000009A34: 04203B02
	v_cndmask_b32_e64 v16, v16, 0, s[36:37]                    // 000000009A38: D1000010 00910110
	v_mov_b32_e32 v2, v29                                      // 000000009A40: 7E04031D
	v_mul_f32_e32 v29, s5, v29                                 // 000000009A44: 0A3A3A05
	v_mul_f32_e32 v16, s5, v16                                 // 000000009A48: 0A202005
	v_exp_f32_e32 v16, v16                                     // 000000009A4C: 7E204110
	v_fma_f32 v42, v42, s5, -v29                               // 000000009A50: D1CB002A 84740B2A
	v_fma_f32 v43, v43, s5, -v29                               // 000000009A58: D1CB002B 84740B2B
	v_fma_f32 v44, v44, s5, -v29                               // 000000009A60: D1CB002C 84740B2C
	v_fma_f32 v45, v45, s5, -v29                               // 000000009A68: D1CB002D 84740B2D
	v_fma_f32 v46, v46, s5, -v29                               // 000000009A70: D1CB002E 84740B2E
	v_fma_f32 v47, v47, s5, -v29                               // 000000009A78: D1CB002F 84740B2F
	v_fma_f32 v48, v48, s5, -v29                               // 000000009A80: D1CB0030 84740B30
	v_fma_f32 v49, v49, s5, -v29                               // 000000009A88: D1CB0031 84740B31
	v_exp_f32_e32 v42, v42                                     // 000000009A90: 7E54412A
	v_exp_f32_e32 v43, v43                                     // 000000009A94: 7E56412B
	v_exp_f32_e32 v44, v44                                     // 000000009A98: 7E58412C
	v_exp_f32_e32 v45, v45                                     // 000000009A9C: 7E5A412D
	v_exp_f32_e32 v46, v46                                     // 000000009AA0: 7E5C412E
	v_exp_f32_e32 v47, v47                                     // 000000009AA4: 7E5E412F
	v_exp_f32_e32 v48, v48                                     // 000000009AA8: 7E604130
	v_exp_f32_e32 v49, v49                                     // 000000009AAC: 7E624131
	v_mul_f32_e32 v4, v16, v4                                  // 000000009AB0: 0A080910
	v_mov_b32_e32 v28, v42                                     // 000000009AB4: 7E38032A
	v_add_f32_e32 v28, v43, v28                                // 000000009AB8: 0238392B
	v_add_f32_e32 v28, v44, v28                                // 000000009ABC: 0238392C
	v_add_f32_e32 v28, v45, v28                                // 000000009AC0: 0238392D
	v_add_f32_e32 v28, v46, v28                                // 000000009AC4: 0238392E
	v_add_f32_e32 v28, v47, v28                                // 000000009AC8: 0238392F
	v_add_f32_e32 v28, v48, v28                                // 000000009ACC: 02383930
	v_add_f32_e32 v28, v49, v28                                // 000000009AD0: 02383931
	v_add_f32_e32 v4, v28, v4                                  // 000000009AD4: 0208091C
	v_cvt_pk_bf16_f32 v42, v42, v43                            // 000000009AD8: D268002A 0002572A
	v_cvt_pk_bf16_f32 v43, v44, v45                            // 000000009AE0: D268002B 00025B2C
	v_cvt_pk_bf16_f32 v44, v46, v47                            // 000000009AE8: D268002C 00025F2E
	v_cvt_pk_bf16_f32 v45, v48, v49                            // 000000009AF0: D268002D 00026330
	s_nop 0                                                    // 000000009AF8: BF800000
	v_permlane32_swap_b32_e32 v42, v44                         // 000000009AFC: 7E54B52C
	v_permlane32_swap_b32_e32 v43, v45                         // 000000009B00: 7E56B52D
	s_nop 0                                                    // 000000009B04: BF800000
	v_permlane16_swap_b32_e32 v42, v44                         // 000000009B08: 7E54B32C
	v_permlane16_swap_b32_e32 v43, v45                         // 000000009B0C: 7E56B32D
	s_waitcnt lgkmcnt(4)                                       // 000000009B10: BF8CC47F
	v_mfma_f32_16x16x32_bf16 v[50:53], a[144:147], v[34:37], v[50:53]// 000000009B14: D3B50032 0CCA4590
	v_mfma_f32_16x16x32_bf16 v[54:57], a[148:151], v[34:37], v[54:57]// 000000009B1C: D3B50036 0CDA4594
	v_mfma_f32_16x16x32_bf16 v[58:61], a[152:155], v[34:37], v[58:61]// 000000009B24: D3B5003A 0CEA4598
	v_mfma_f32_16x16x32_bf16 v[62:65], a[156:159], v[34:37], v[62:65]// 000000009B2C: D3B5003E 0CFA459C
	v_mfma_f32_16x16x32_bf16 v[66:69], a[160:163], v[34:37], v[66:69]// 000000009B34: D3B50042 0D0A45A0
	v_mfma_f32_16x16x32_bf16 v[70:73], a[164:167], v[34:37], v[70:73]// 000000009B3C: D3B50046 0D1A45A4
	v_mfma_f32_16x16x32_bf16 v[74:77], a[168:171], v[34:37], v[74:77]// 000000009B44: D3B5004A 0D2A45A8
	v_mfma_f32_16x16x32_bf16 v[78:81], a[172:175], v[34:37], v[78:81]// 000000009B4C: D3B5004E 0D3A45AC
	v_mfma_f32_16x16x32_bf16 v[82:85], a[176:179], v[34:37], v[82:85]// 000000009B54: D3B50052 0D4A45B0
	v_mfma_f32_16x16x32_bf16 v[86:89], a[180:183], v[34:37], v[86:89]// 000000009B5C: D3B50056 0D5A45B4
	v_mfma_f32_16x16x32_bf16 v[90:93], a[184:187], v[34:37], v[90:93]// 000000009B64: D3B5005A 0D6A45B8
	v_mfma_f32_16x16x32_bf16 v[94:97], a[188:191], v[34:37], v[94:97]// 000000009B6C: D3B5005E 0D7A45BC
	v_mfma_f32_16x16x32_bf16 v[98:101], a[192:195], v[34:37], v[98:101]// 000000009B74: D3B50062 0D8A45C0
	v_mfma_f32_16x16x32_bf16 v[102:105], a[196:199], v[34:37], v[102:105]// 000000009B7C: D3B50066 0D9A45C4
	v_mfma_f32_16x16x32_bf16 v[106:109], a[200:203], v[34:37], v[106:109]// 000000009B84: D3B5006A 0DAA45C8
	v_mfma_f32_16x16x32_bf16 v[110:113], a[204:207], v[34:37], v[110:113]// 000000009B8C: D3B5006E 0DBA45CC
	ds_read_b64_tr_b16 a[144:145], v8 offset:8192              // 000000009B94: DBC62000 90000008
	ds_read_b64_tr_b16 a[146:147], v8 offset:8448              // 000000009B9C: DBC62100 92000008
	ds_read_b64_tr_b16 a[148:149], v9 offset:8192              // 000000009BA4: DBC62000 94000009
	ds_read_b64_tr_b16 a[150:151], v9 offset:8448              // 000000009BAC: DBC62100 96000009
	ds_read_b64_tr_b16 a[152:153], v8 offset:9216              // 000000009BB4: DBC62400 98000008
	ds_read_b64_tr_b16 a[154:155], v8 offset:9472              // 000000009BBC: DBC62500 9A000008
	ds_read_b64_tr_b16 a[156:157], v9 offset:9216              // 000000009BC4: DBC62400 9C000009
	ds_read_b64_tr_b16 a[158:159], v9 offset:9472              // 000000009BCC: DBC62500 9E000009
	ds_read_b64_tr_b16 a[160:161], v8 offset:10240             // 000000009BD4: DBC62800 A0000008
	ds_read_b64_tr_b16 a[162:163], v8 offset:10496             // 000000009BDC: DBC62900 A2000008
	ds_read_b64_tr_b16 a[164:165], v9 offset:10240             // 000000009BE4: DBC62800 A4000009
	ds_read_b64_tr_b16 a[166:167], v9 offset:10496             // 000000009BEC: DBC62900 A6000009
	ds_read_b64_tr_b16 a[168:169], v8 offset:11264             // 000000009BF4: DBC62C00 A8000008
	ds_read_b64_tr_b16 a[170:171], v8 offset:11520             // 000000009BFC: DBC62D00 AA000008
	ds_read_b64_tr_b16 a[172:173], v9 offset:11264             // 000000009C04: DBC62C00 AC000009
	ds_read_b64_tr_b16 a[174:175], v9 offset:11520             // 000000009C0C: DBC62D00 AE000009
	ds_read_b64_tr_b16 a[176:177], v8 offset:12288             // 000000009C14: DBC63000 B0000008
	ds_read_b64_tr_b16 a[178:179], v8 offset:12544             // 000000009C1C: DBC63100 B2000008
	ds_read_b64_tr_b16 a[180:181], v9 offset:12288             // 000000009C24: DBC63000 B4000009
	ds_read_b64_tr_b16 a[182:183], v9 offset:12544             // 000000009C2C: DBC63100 B6000009
	ds_read_b64_tr_b16 a[184:185], v8 offset:13312             // 000000009C34: DBC63400 B8000008
	ds_read_b64_tr_b16 a[186:187], v8 offset:13568             // 000000009C3C: DBC63500 BA000008
	ds_read_b64_tr_b16 a[188:189], v9 offset:13312             // 000000009C44: DBC63400 BC000009
	ds_read_b64_tr_b16 a[190:191], v9 offset:13568             // 000000009C4C: DBC63500 BE000009
	ds_read_b64_tr_b16 a[192:193], v8 offset:14336             // 000000009C54: DBC63800 C0000008
	ds_read_b64_tr_b16 a[194:195], v8 offset:14592             // 000000009C5C: DBC63900 C2000008
	ds_read_b64_tr_b16 a[196:197], v9 offset:14336             // 000000009C64: DBC63800 C4000009
	ds_read_b64_tr_b16 a[198:199], v9 offset:14592             // 000000009C6C: DBC63900 C6000009
	ds_read_b64_tr_b16 a[200:201], v8 offset:15360             // 000000009C74: DBC63C00 C8000008
	ds_read_b64_tr_b16 a[202:203], v8 offset:15616             // 000000009C7C: DBC63D00 CA000008
	ds_read_b64_tr_b16 a[204:205], v9 offset:15360             // 000000009C84: DBC63C00 CC000009
	ds_read_b64_tr_b16 a[206:207], v9 offset:15616             // 000000009C8C: DBC63D00 CE000009
	s_waitcnt lgkmcnt(0)                                       // 000000009C94: BF8CC07F
	v_mfma_f32_16x16x32_bf16 v[114:117], a[144:147], v[34:37], v[114:117]// 000000009C98: D3B50072 0DCA4590
	v_mfma_f32_16x16x32_bf16 v[118:121], a[148:151], v[34:37], v[118:121]// 000000009CA0: D3B50076 0DDA4594
	v_mfma_f32_16x16x32_bf16 v[122:125], a[152:155], v[34:37], v[122:125]// 000000009CA8: D3B5007A 0DEA4598
	v_mfma_f32_16x16x32_bf16 v[126:129], a[156:159], v[34:37], v[126:129]// 000000009CB0: D3B5007E 0DFA459C
	v_mfma_f32_16x16x32_bf16 v[130:133], a[160:163], v[34:37], v[130:133]// 000000009CB8: D3B50082 0E0A45A0
	v_mfma_f32_16x16x32_bf16 v[134:137], a[164:167], v[34:37], v[134:137]// 000000009CC0: D3B50086 0E1A45A4
	v_mfma_f32_16x16x32_bf16 v[138:141], a[168:171], v[34:37], v[138:141]// 000000009CC8: D3B5008A 0E2A45A8
	v_mfma_f32_16x16x32_bf16 v[142:145], a[172:175], v[34:37], v[142:145]// 000000009CD0: D3B5008E 0E3A45AC
	v_mfma_f32_16x16x32_bf16 v[146:149], a[176:179], v[34:37], v[146:149]// 000000009CD8: D3B50092 0E4A45B0
	v_mfma_f32_16x16x32_bf16 v[150:153], a[180:183], v[34:37], v[150:153]// 000000009CE0: D3B50096 0E5A45B4
	v_mfma_f32_16x16x32_bf16 v[154:157], a[184:187], v[34:37], v[154:157]// 000000009CE8: D3B5009A 0E6A45B8
	v_mfma_f32_16x16x32_bf16 v[158:161], a[188:191], v[34:37], v[158:161]// 000000009CF0: D3B5009E 0E7A45BC
	v_mfma_f32_16x16x32_bf16 v[162:165], a[192:195], v[34:37], v[162:165]// 000000009CF8: D3B500A2 0E8A45C0
	v_mfma_f32_16x16x32_bf16 v[166:169], a[196:199], v[34:37], v[166:169]// 000000009D00: D3B500A6 0E9A45C4
	v_mfma_f32_16x16x32_bf16 v[170:173], a[200:203], v[34:37], v[170:173]// 000000009D08: D3B500AA 0EAA45C8
	v_mfma_f32_16x16x32_bf16 v[174:177], a[204:207], v[34:37], v[174:177]// 000000009D10: D3B500AE 0EBA45CC
	ds_read_b64_tr_b16 a[144:145], v10                         // 000000009D18: DBC60000 9000000A
	ds_read_b64_tr_b16 a[146:147], v10 offset:256              // 000000009D20: DBC60100 9200000A
	ds_read_b64_tr_b16 a[148:149], v11                         // 000000009D28: DBC60000 9400000B
	ds_read_b64_tr_b16 a[150:151], v11 offset:256              // 000000009D30: DBC60100 9600000B
	ds_read_b64_tr_b16 a[152:153], v10 offset:1024             // 000000009D38: DBC60400 9800000A
	ds_read_b64_tr_b16 a[154:155], v10 offset:1280             // 000000009D40: DBC60500 9A00000A
	ds_read_b64_tr_b16 a[156:157], v11 offset:1024             // 000000009D48: DBC60400 9C00000B
	ds_read_b64_tr_b16 a[158:159], v11 offset:1280             // 000000009D50: DBC60500 9E00000B
	ds_read_b64_tr_b16 a[160:161], v10 offset:2048             // 000000009D58: DBC60800 A000000A
	ds_read_b64_tr_b16 a[162:163], v10 offset:2304             // 000000009D60: DBC60900 A200000A
	ds_read_b64_tr_b16 a[164:165], v11 offset:2048             // 000000009D68: DBC60800 A400000B
	ds_read_b64_tr_b16 a[166:167], v11 offset:2304             // 000000009D70: DBC60900 A600000B
	ds_read_b64_tr_b16 a[168:169], v10 offset:3072             // 000000009D78: DBC60C00 A800000A
	ds_read_b64_tr_b16 a[170:171], v10 offset:3328             // 000000009D80: DBC60D00 AA00000A
	ds_read_b64_tr_b16 a[172:173], v11 offset:3072             // 000000009D88: DBC60C00 AC00000B
	ds_read_b64_tr_b16 a[174:175], v11 offset:3328             // 000000009D90: DBC60D00 AE00000B
	ds_read_b64_tr_b16 a[176:177], v10 offset:4096             // 000000009D98: DBC61000 B000000A
	ds_read_b64_tr_b16 a[178:179], v10 offset:4352             // 000000009DA0: DBC61100 B200000A
	ds_read_b64_tr_b16 a[180:181], v11 offset:4096             // 000000009DA8: DBC61000 B400000B
	ds_read_b64_tr_b16 a[182:183], v11 offset:4352             // 000000009DB0: DBC61100 B600000B
	ds_read_b64_tr_b16 a[184:185], v10 offset:5120             // 000000009DB8: DBC61400 B800000A
	ds_read_b64_tr_b16 a[186:187], v10 offset:5376             // 000000009DC0: DBC61500 BA00000A
	ds_read_b64_tr_b16 a[188:189], v11 offset:5120             // 000000009DC8: DBC61400 BC00000B
	ds_read_b64_tr_b16 a[190:191], v11 offset:5376             // 000000009DD0: DBC61500 BE00000B
	ds_read_b64_tr_b16 a[192:193], v10 offset:6144             // 000000009DD8: DBC61800 C000000A
	ds_read_b64_tr_b16 a[194:195], v10 offset:6400             // 000000009DE0: DBC61900 C200000A
	ds_read_b64_tr_b16 a[196:197], v11 offset:6144             // 000000009DE8: DBC61800 C400000B
	ds_read_b64_tr_b16 a[198:199], v11 offset:6400             // 000000009DF0: DBC61900 C600000B
	ds_read_b64_tr_b16 a[200:201], v10 offset:7168             // 000000009DF8: DBC61C00 C800000A
	ds_read_b64_tr_b16 a[202:203], v10 offset:7424             // 000000009E00: DBC61D00 CA00000A
	ds_read_b64_tr_b16 a[204:205], v11 offset:7168             // 000000009E08: DBC61C00 CC00000B
	ds_read_b64_tr_b16 a[206:207], v11 offset:7424             // 000000009E10: DBC61D00 CE00000B
	v_mov_b32_e32 v30, v16                                     // 000000009E18: 7E3C0310
	v_mov_b32_e32 v31, v16                                     // 000000009E1C: 7E3E0310
	v_pk_mul_f32 v[50:51], v[30:31], v[50:51]                  // 000000009E20: D3B14032 1802651E
	v_pk_mul_f32 v[52:53], v[30:31], v[52:53]                  // 000000009E28: D3B14034 1802691E
	v_pk_mul_f32 v[54:55], v[30:31], v[54:55]                  // 000000009E30: D3B14036 18026D1E
	v_pk_mul_f32 v[56:57], v[30:31], v[56:57]                  // 000000009E38: D3B14038 1802711E
	v_pk_mul_f32 v[58:59], v[30:31], v[58:59]                  // 000000009E40: D3B1403A 1802751E
	v_pk_mul_f32 v[60:61], v[30:31], v[60:61]                  // 000000009E48: D3B1403C 1802791E
	v_pk_mul_f32 v[62:63], v[30:31], v[62:63]                  // 000000009E50: D3B1403E 18027D1E
	v_pk_mul_f32 v[64:65], v[30:31], v[64:65]                  // 000000009E58: D3B14040 1802811E
	v_pk_mul_f32 v[66:67], v[30:31], v[66:67]                  // 000000009E60: D3B14042 1802851E
	v_pk_mul_f32 v[68:69], v[30:31], v[68:69]                  // 000000009E68: D3B14044 1802891E
	v_pk_mul_f32 v[70:71], v[30:31], v[70:71]                  // 000000009E70: D3B14046 18028D1E
	v_pk_mul_f32 v[72:73], v[30:31], v[72:73]                  // 000000009E78: D3B14048 1802911E
	v_pk_mul_f32 v[74:75], v[30:31], v[74:75]                  // 000000009E80: D3B1404A 1802951E
	v_pk_mul_f32 v[76:77], v[30:31], v[76:77]                  // 000000009E88: D3B1404C 1802991E
	v_pk_mul_f32 v[78:79], v[30:31], v[78:79]                  // 000000009E90: D3B1404E 18029D1E
	v_pk_mul_f32 v[80:81], v[30:31], v[80:81]                  // 000000009E98: D3B14050 1802A11E
	v_pk_mul_f32 v[82:83], v[30:31], v[82:83]                  // 000000009EA0: D3B14052 1802A51E
	v_pk_mul_f32 v[84:85], v[30:31], v[84:85]                  // 000000009EA8: D3B14054 1802A91E
	v_pk_mul_f32 v[86:87], v[30:31], v[86:87]                  // 000000009EB0: D3B14056 1802AD1E
	v_pk_mul_f32 v[88:89], v[30:31], v[88:89]                  // 000000009EB8: D3B14058 1802B11E
	v_pk_mul_f32 v[90:91], v[30:31], v[90:91]                  // 000000009EC0: D3B1405A 1802B51E
	v_pk_mul_f32 v[92:93], v[30:31], v[92:93]                  // 000000009EC8: D3B1405C 1802B91E
	v_pk_mul_f32 v[94:95], v[30:31], v[94:95]                  // 000000009ED0: D3B1405E 1802BD1E
	v_pk_mul_f32 v[96:97], v[30:31], v[96:97]                  // 000000009ED8: D3B14060 1802C11E
	v_pk_mul_f32 v[98:99], v[30:31], v[98:99]                  // 000000009EE0: D3B14062 1802C51E
	v_pk_mul_f32 v[100:101], v[30:31], v[100:101]              // 000000009EE8: D3B14064 1802C91E
	v_pk_mul_f32 v[102:103], v[30:31], v[102:103]              // 000000009EF0: D3B14066 1802CD1E
	v_pk_mul_f32 v[104:105], v[30:31], v[104:105]              // 000000009EF8: D3B14068 1802D11E
	v_pk_mul_f32 v[106:107], v[30:31], v[106:107]              // 000000009F00: D3B1406A 1802D51E
	v_pk_mul_f32 v[108:109], v[30:31], v[108:109]              // 000000009F08: D3B1406C 1802D91E
	v_pk_mul_f32 v[110:111], v[30:31], v[110:111]              // 000000009F10: D3B1406E 1802DD1E
	v_pk_mul_f32 v[112:113], v[30:31], v[112:113]              // 000000009F18: D3B14070 1802E11E
	v_pk_mul_f32 v[114:115], v[30:31], v[114:115]              // 000000009F20: D3B14072 1802E51E
	v_pk_mul_f32 v[116:117], v[30:31], v[116:117]              // 000000009F28: D3B14074 1802E91E
	v_pk_mul_f32 v[118:119], v[30:31], v[118:119]              // 000000009F30: D3B14076 1802ED1E
	v_pk_mul_f32 v[120:121], v[30:31], v[120:121]              // 000000009F38: D3B14078 1802F11E
	v_pk_mul_f32 v[122:123], v[30:31], v[122:123]              // 000000009F40: D3B1407A 1802F51E
	v_pk_mul_f32 v[124:125], v[30:31], v[124:125]              // 000000009F48: D3B1407C 1802F91E
	v_pk_mul_f32 v[126:127], v[30:31], v[126:127]              // 000000009F50: D3B1407E 1802FD1E
	v_pk_mul_f32 v[128:129], v[30:31], v[128:129]              // 000000009F58: D3B14080 1803011E
	v_pk_mul_f32 v[130:131], v[30:31], v[130:131]              // 000000009F60: D3B14082 1803051E
	v_pk_mul_f32 v[132:133], v[30:31], v[132:133]              // 000000009F68: D3B14084 1803091E
	v_pk_mul_f32 v[134:135], v[30:31], v[134:135]              // 000000009F70: D3B14086 18030D1E
	v_pk_mul_f32 v[136:137], v[30:31], v[136:137]              // 000000009F78: D3B14088 1803111E
	v_pk_mul_f32 v[138:139], v[30:31], v[138:139]              // 000000009F80: D3B1408A 1803151E
	v_pk_mul_f32 v[140:141], v[30:31], v[140:141]              // 000000009F88: D3B1408C 1803191E
	v_pk_mul_f32 v[142:143], v[30:31], v[142:143]              // 000000009F90: D3B1408E 18031D1E
	v_pk_mul_f32 v[144:145], v[30:31], v[144:145]              // 000000009F98: D3B14090 1803211E
	v_pk_mul_f32 v[146:147], v[30:31], v[146:147]              // 000000009FA0: D3B14092 1803251E
	v_pk_mul_f32 v[148:149], v[30:31], v[148:149]              // 000000009FA8: D3B14094 1803291E
	v_pk_mul_f32 v[150:151], v[30:31], v[150:151]              // 000000009FB0: D3B14096 18032D1E
	v_pk_mul_f32 v[152:153], v[30:31], v[152:153]              // 000000009FB8: D3B14098 1803311E
	v_pk_mul_f32 v[154:155], v[30:31], v[154:155]              // 000000009FC0: D3B1409A 1803351E
	v_pk_mul_f32 v[156:157], v[30:31], v[156:157]              // 000000009FC8: D3B1409C 1803391E
	v_pk_mul_f32 v[158:159], v[30:31], v[158:159]              // 000000009FD0: D3B1409E 18033D1E
	v_pk_mul_f32 v[160:161], v[30:31], v[160:161]              // 000000009FD8: D3B140A0 1803411E
	v_pk_mul_f32 v[162:163], v[30:31], v[162:163]              // 000000009FE0: D3B140A2 1803451E
	v_pk_mul_f32 v[164:165], v[30:31], v[164:165]              // 000000009FE8: D3B140A4 1803491E
	v_pk_mul_f32 v[166:167], v[30:31], v[166:167]              // 000000009FF0: D3B140A6 18034D1E
	v_pk_mul_f32 v[168:169], v[30:31], v[168:169]              // 000000009FF8: D3B140A8 1803511E
	v_pk_mul_f32 v[170:171], v[30:31], v[170:171]              // 00000000A000: D3B140AA 1803551E
	v_pk_mul_f32 v[172:173], v[30:31], v[172:173]              // 00000000A008: D3B140AC 1803591E
	v_pk_mul_f32 v[174:175], v[30:31], v[174:175]              // 00000000A010: D3B140AE 18035D1E
	v_pk_mul_f32 v[176:177], v[30:31], v[176:177]              // 00000000A018: D3B140B0 1803611E
	s_waitcnt lgkmcnt(4)                                       // 00000000A020: BF8CC47F
	v_mfma_f32_16x16x32_bf16 v[50:53], a[144:147], v[42:45], v[50:53]// 00000000A024: D3B50032 0CCA5590
	v_mfma_f32_16x16x32_bf16 v[54:57], a[148:151], v[42:45], v[54:57]// 00000000A02C: D3B50036 0CDA5594
	v_mfma_f32_16x16x32_bf16 v[58:61], a[152:155], v[42:45], v[58:61]// 00000000A034: D3B5003A 0CEA5598
	v_mfma_f32_16x16x32_bf16 v[62:65], a[156:159], v[42:45], v[62:65]// 00000000A03C: D3B5003E 0CFA559C
	v_mfma_f32_16x16x32_bf16 v[66:69], a[160:163], v[42:45], v[66:69]// 00000000A044: D3B50042 0D0A55A0
	v_mfma_f32_16x16x32_bf16 v[70:73], a[164:167], v[42:45], v[70:73]// 00000000A04C: D3B50046 0D1A55A4
	v_mfma_f32_16x16x32_bf16 v[74:77], a[168:171], v[42:45], v[74:77]// 00000000A054: D3B5004A 0D2A55A8
	v_mfma_f32_16x16x32_bf16 v[78:81], a[172:175], v[42:45], v[78:81]// 00000000A05C: D3B5004E 0D3A55AC
	v_mfma_f32_16x16x32_bf16 v[82:85], a[176:179], v[42:45], v[82:85]// 00000000A064: D3B50052 0D4A55B0
	v_mfma_f32_16x16x32_bf16 v[86:89], a[180:183], v[42:45], v[86:89]// 00000000A06C: D3B50056 0D5A55B4
	v_mfma_f32_16x16x32_bf16 v[90:93], a[184:187], v[42:45], v[90:93]// 00000000A074: D3B5005A 0D6A55B8
	v_mfma_f32_16x16x32_bf16 v[94:97], a[188:191], v[42:45], v[94:97]// 00000000A07C: D3B5005E 0D7A55BC
	v_mfma_f32_16x16x32_bf16 v[98:101], a[192:195], v[42:45], v[98:101]// 00000000A084: D3B50062 0D8A55C0
	v_mfma_f32_16x16x32_bf16 v[102:105], a[196:199], v[42:45], v[102:105]// 00000000A08C: D3B50066 0D9A55C4
	v_mfma_f32_16x16x32_bf16 v[106:109], a[200:203], v[42:45], v[106:109]// 00000000A094: D3B5006A 0DAA55C8
	v_mfma_f32_16x16x32_bf16 v[110:113], a[204:207], v[42:45], v[110:113]// 00000000A09C: D3B5006E 0DBA55CC
	ds_read_b64_tr_b16 a[144:145], v10 offset:8192             // 00000000A0A4: DBC62000 9000000A
	ds_read_b64_tr_b16 a[146:147], v10 offset:8448             // 00000000A0AC: DBC62100 9200000A
	ds_read_b64_tr_b16 a[148:149], v11 offset:8192             // 00000000A0B4: DBC62000 9400000B
	ds_read_b64_tr_b16 a[150:151], v11 offset:8448             // 00000000A0BC: DBC62100 9600000B
	ds_read_b64_tr_b16 a[152:153], v10 offset:9216             // 00000000A0C4: DBC62400 9800000A
	ds_read_b64_tr_b16 a[154:155], v10 offset:9472             // 00000000A0CC: DBC62500 9A00000A
	ds_read_b64_tr_b16 a[156:157], v11 offset:9216             // 00000000A0D4: DBC62400 9C00000B
	ds_read_b64_tr_b16 a[158:159], v11 offset:9472             // 00000000A0DC: DBC62500 9E00000B
	ds_read_b64_tr_b16 a[160:161], v10 offset:10240            // 00000000A0E4: DBC62800 A000000A
	ds_read_b64_tr_b16 a[162:163], v10 offset:10496            // 00000000A0EC: DBC62900 A200000A
	ds_read_b64_tr_b16 a[164:165], v11 offset:10240            // 00000000A0F4: DBC62800 A400000B
	ds_read_b64_tr_b16 a[166:167], v11 offset:10496            // 00000000A0FC: DBC62900 A600000B
	ds_read_b64_tr_b16 a[168:169], v10 offset:11264            // 00000000A104: DBC62C00 A800000A
	ds_read_b64_tr_b16 a[170:171], v10 offset:11520            // 00000000A10C: DBC62D00 AA00000A
	ds_read_b64_tr_b16 a[172:173], v11 offset:11264            // 00000000A114: DBC62C00 AC00000B
	ds_read_b64_tr_b16 a[174:175], v11 offset:11520            // 00000000A11C: DBC62D00 AE00000B
	ds_read_b64_tr_b16 a[176:177], v10 offset:12288            // 00000000A124: DBC63000 B000000A
	ds_read_b64_tr_b16 a[178:179], v10 offset:12544            // 00000000A12C: DBC63100 B200000A
	ds_read_b64_tr_b16 a[180:181], v11 offset:12288            // 00000000A134: DBC63000 B400000B
	ds_read_b64_tr_b16 a[182:183], v11 offset:12544            // 00000000A13C: DBC63100 B600000B
	ds_read_b64_tr_b16 a[184:185], v10 offset:13312            // 00000000A144: DBC63400 B800000A
	ds_read_b64_tr_b16 a[186:187], v10 offset:13568            // 00000000A14C: DBC63500 BA00000A
	ds_read_b64_tr_b16 a[188:189], v11 offset:13312            // 00000000A154: DBC63400 BC00000B
	ds_read_b64_tr_b16 a[190:191], v11 offset:13568            // 00000000A15C: DBC63500 BE00000B
	ds_read_b64_tr_b16 a[192:193], v10 offset:14336            // 00000000A164: DBC63800 C000000A
	ds_read_b64_tr_b16 a[194:195], v10 offset:14592            // 00000000A16C: DBC63900 C200000A
	ds_read_b64_tr_b16 a[196:197], v11 offset:14336            // 00000000A174: DBC63800 C400000B
	ds_read_b64_tr_b16 a[198:199], v11 offset:14592            // 00000000A17C: DBC63900 C600000B
	ds_read_b64_tr_b16 a[200:201], v10 offset:15360            // 00000000A184: DBC63C00 C800000A
	ds_read_b64_tr_b16 a[202:203], v10 offset:15616            // 00000000A18C: DBC63D00 CA00000A
	ds_read_b64_tr_b16 a[204:205], v11 offset:15360            // 00000000A194: DBC63C00 CC00000B
	ds_read_b64_tr_b16 a[206:207], v11 offset:15616            // 00000000A19C: DBC63D00 CE00000B
	s_waitcnt vmcnt(0)                                         // 00000000A1A4: BF8C0F70
	s_barrier                                                  // 00000000A1A8: BF8A0000
	s_waitcnt lgkmcnt(0)                                       // 00000000A1AC: BF8CC07F
	v_mfma_f32_16x16x32_bf16 v[114:117], a[144:147], v[42:45], v[114:117]// 00000000A1B0: D3B50072 0DCA5590
	ds_read_b128 a[72:75], v20                                 // 00000000A1B8: DBFE0000 48000014
	ds_read_b128 a[76:79], v20 offset:1024                     // 00000000A1C0: DBFE0400 4C000014
	v_mfma_f32_16x16x32_bf16 v[118:121], a[148:151], v[42:45], v[118:121]// 00000000A1C8: D3B50076 0DDA5594
	ds_read_b128 a[80:83], v20 offset:2048                     // 00000000A1D0: DBFE0800 50000014
	ds_read_b128 a[84:87], v20 offset:3072                     // 00000000A1D8: DBFE0C00 54000014
	v_mfma_f32_16x16x32_bf16 v[122:125], a[152:155], v[42:45], v[122:125]// 00000000A1E0: D3B5007A 0DEA5598
	ds_read_b128 a[88:91], v20 offset:4096                     // 00000000A1E8: DBFE1000 58000014
	ds_read_b128 a[92:95], v20 offset:5120                     // 00000000A1F0: DBFE1400 5C000014
	v_mfma_f32_16x16x32_bf16 v[126:129], a[156:159], v[42:45], v[126:129]// 00000000A1F8: D3B5007E 0DFA559C
	ds_read_b128 a[96:99], v20 offset:6144                     // 00000000A200: DBFE1800 60000014
	ds_read_b128 a[100:103], v20 offset:7168                   // 00000000A208: DBFE1C00 64000014
	v_mfma_f32_16x16x32_bf16 v[130:133], a[160:163], v[42:45], v[130:133]// 00000000A210: D3B50082 0E0A55A0
	ds_read_b128 a[104:107], v20 offset:8192                   // 00000000A218: DBFE2000 68000014
	ds_read_b128 a[108:111], v20 offset:9216                   // 00000000A220: DBFE2400 6C000014
	v_mfma_f32_16x16x32_bf16 v[134:137], a[164:167], v[42:45], v[134:137]// 00000000A228: D3B50086 0E1A55A4
	ds_read_b128 a[112:115], v20 offset:10240                  // 00000000A230: DBFE2800 70000014
	ds_read_b128 a[116:119], v20 offset:11264                  // 00000000A238: DBFE2C00 74000014
	v_mfma_f32_16x16x32_bf16 v[138:141], a[168:171], v[42:45], v[138:141]// 00000000A240: D3B5008A 0E2A55A8
	ds_read_b128 a[120:123], v20 offset:12288                  // 00000000A248: DBFE3000 78000014
	ds_read_b128 a[124:127], v20 offset:13312                  // 00000000A250: DBFE3400 7C000014
	v_mfma_f32_16x16x32_bf16 v[142:145], a[172:175], v[42:45], v[142:145]// 00000000A258: D3B5008E 0E3A55AC
	ds_read_b128 a[128:131], v20 offset:14336                  // 00000000A260: DBFE3800 80000014
	ds_read_b128 a[132:135], v20 offset:15360                  // 00000000A268: DBFE3C00 84000014
	v_mfma_f32_16x16x32_bf16 v[146:149], a[176:179], v[42:45], v[146:149]// 00000000A270: D3B50092 0E4A55B0
	ds_read_b128 a[136:139], v20 offset:16384                  // 00000000A278: DBFE4000 88000014
	ds_read_b128 a[140:143], v20 offset:17408                  // 00000000A280: DBFE4400 8C000014
	v_mfma_f32_16x16x32_bf16 v[150:153], a[180:183], v[42:45], v[150:153]// 00000000A288: D3B50096 0E5A55B4
	v_mfma_f32_16x16x32_bf16 v[154:157], a[184:187], v[42:45], v[154:157]// 00000000A290: D3B5009A 0E6A55B8
	v_mfma_f32_16x16x32_bf16 v[158:161], a[188:191], v[42:45], v[158:161]// 00000000A298: D3B5009E 0E7A55BC
	v_mfma_f32_16x16x32_bf16 v[162:165], a[192:195], v[42:45], v[162:165]// 00000000A2A0: D3B500A2 0E8A55C0
	v_mfma_f32_16x16x32_bf16 v[166:169], a[196:199], v[42:45], v[166:169]// 00000000A2A8: D3B500A6 0E9A55C4
	v_mfma_f32_16x16x32_bf16 v[170:173], a[200:203], v[42:45], v[170:173]// 00000000A2B0: D3B500AA 0EAA55C8
	v_mfma_f32_16x16x32_bf16 v[174:177], a[204:207], v[42:45], v[174:177]// 00000000A2B8: D3B500AE 0EBA55CC
	s_branch label_86C4                                        // 00000000A2C0: BF820240

000000000000a2c4 <label_7DC4>:
	s_nop 2                                                    // 00000000A2C4: BF800002
	v_mov_b32_e32 v29, v34                                     // 00000000A2C8: 7E3A0322
	v_max3_f32 v29, v34, v35, v29                              // 00000000A2CC: D1D3001D 04764722
	v_max3_f32 v29, v36, v37, v29                              // 00000000A2D4: D1D3001D 04764B24
	v_max3_f32 v29, v38, v39, v29                              // 00000000A2DC: D1D3001D 04764F26
	v_max3_f32 v29, v40, v41, v29                              // 00000000A2E4: D1D3001D 04765328
	v_mov_b32_e32 v28, v29                                     // 00000000A2EC: 7E38031D
	v_mov_b32_e32 v29, v29                                     // 00000000A2F0: 7E3A031D
	s_nop 1                                                    // 00000000A2F4: BF800001
	v_permlane16_swap_b32_e32 v28, v29                         // 00000000A2F8: 7E38B31D
	v_mov_b32_e32 v31, v28                                     // 00000000A2FC: 7E3E031C
	v_mov_b32_e32 v30, v29                                     // 00000000A300: 7E3C031D
	s_nop 1                                                    // 00000000A304: BF800001
	v_permlane32_swap_b32_e32 v28, v29                         // 00000000A308: 7E38B51D
	v_permlane32_swap_b32_e32 v30, v31                         // 00000000A30C: 7E3CB51F
	v_max3_f32 v29, v28, v29, v29                              // 00000000A310: D1D3001D 04763B1C
	v_max3_f32 v29, v30, v31, v29                              // 00000000A318: D1D3001D 04763F1E
	v_mov_b32_e32 v28, 0xff800000                              // 00000000A320: 7E3802FF FF800000
	v_cmp_eq_u32_e64 s[36:37], v28, v2                         // 00000000A328: D0CA0024 0002051C
	v_max_f32_e32 v29, v29, v2                                 // 00000000A330: 163A051D
	v_sub_f32_e32 v16, v2, v29                                 // 00000000A334: 04203B02
	v_cndmask_b32_e64 v16, v16, 0, s[36:37]                    // 00000000A338: D1000010 00910110
	v_mov_b32_e32 v2, v29                                      // 00000000A340: 7E04031D
	v_mul_f32_e32 v29, s5, v29                                 // 00000000A344: 0A3A3A05
	v_mul_f32_e32 v16, s5, v16                                 // 00000000A348: 0A202005
	v_exp_f32_e32 v16, v16                                     // 00000000A34C: 7E204110
	v_fma_f32 v34, v34, s5, -v29                               // 00000000A350: D1CB0022 84740B22
	v_fma_f32 v35, v35, s5, -v29                               // 00000000A358: D1CB0023 84740B23
	v_fma_f32 v36, v36, s5, -v29                               // 00000000A360: D1CB0024 84740B24
	v_fma_f32 v37, v37, s5, -v29                               // 00000000A368: D1CB0025 84740B25
	v_fma_f32 v38, v38, s5, -v29                               // 00000000A370: D1CB0026 84740B26
	v_fma_f32 v39, v39, s5, -v29                               // 00000000A378: D1CB0027 84740B27
	v_fma_f32 v40, v40, s5, -v29                               // 00000000A380: D1CB0028 84740B28
	v_fma_f32 v41, v41, s5, -v29                               // 00000000A388: D1CB0029 84740B29
	v_exp_f32_e32 v34, v34                                     // 00000000A390: 7E444122
	v_exp_f32_e32 v35, v35                                     // 00000000A394: 7E464123
	v_exp_f32_e32 v36, v36                                     // 00000000A398: 7E484124
	v_exp_f32_e32 v37, v37                                     // 00000000A39C: 7E4A4125
	v_exp_f32_e32 v38, v38                                     // 00000000A3A0: 7E4C4126
	v_exp_f32_e32 v39, v39                                     // 00000000A3A4: 7E4E4127
	v_exp_f32_e32 v40, v40                                     // 00000000A3A8: 7E504128
	v_exp_f32_e32 v41, v41                                     // 00000000A3AC: 7E524129
	v_mul_f32_e32 v4, v16, v4                                  // 00000000A3B0: 0A080910
	v_mov_b32_e32 v28, v34                                     // 00000000A3B4: 7E380322
	v_add_f32_e32 v28, v35, v28                                // 00000000A3B8: 02383923
	v_add_f32_e32 v28, v36, v28                                // 00000000A3BC: 02383924
	v_add_f32_e32 v28, v37, v28                                // 00000000A3C0: 02383925
	v_add_f32_e32 v28, v38, v28                                // 00000000A3C4: 02383926
	v_add_f32_e32 v28, v39, v28                                // 00000000A3C8: 02383927
	v_add_f32_e32 v28, v40, v28                                // 00000000A3CC: 02383928
	v_add_f32_e32 v28, v41, v28                                // 00000000A3D0: 02383929
	v_add_f32_e32 v4, v28, v4                                  // 00000000A3D4: 0208091C
	v_cvt_pk_bf16_f32 v34, v34, v35                            // 00000000A3D8: D2680022 00024722
	v_cvt_pk_bf16_f32 v35, v36, v37                            // 00000000A3E0: D2680023 00024B24
	v_cvt_pk_bf16_f32 v36, v38, v39                            // 00000000A3E8: D2680024 00024F26
	v_cvt_pk_bf16_f32 v37, v40, v41                            // 00000000A3F0: D2680025 00025328
	s_nop 0                                                    // 00000000A3F8: BF800000
	v_permlane32_swap_b32_e32 v34, v36                         // 00000000A3FC: 7E44B524
	v_permlane32_swap_b32_e32 v35, v37                         // 00000000A400: 7E46B525
	s_nop 0                                                    // 00000000A404: BF800000
	v_permlane16_swap_b32_e32 v34, v36                         // 00000000A408: 7E44B324
	v_permlane16_swap_b32_e32 v35, v37                         // 00000000A40C: 7E46B325
	s_waitcnt lgkmcnt(4)                                       // 00000000A410: BF8CC47F
	v_mfma_f32_16x16x32_bf16 v[50:53], a[144:147], v[42:45], v[50:53]// 00000000A414: D3B50032 0CCA5590
	v_mfma_f32_16x16x32_bf16 v[54:57], a[148:151], v[42:45], v[54:57]// 00000000A41C: D3B50036 0CDA5594
	v_mfma_f32_16x16x32_bf16 v[58:61], a[152:155], v[42:45], v[58:61]// 00000000A424: D3B5003A 0CEA5598
	v_mfma_f32_16x16x32_bf16 v[62:65], a[156:159], v[42:45], v[62:65]// 00000000A42C: D3B5003E 0CFA559C
	v_mfma_f32_16x16x32_bf16 v[66:69], a[160:163], v[42:45], v[66:69]// 00000000A434: D3B50042 0D0A55A0
	v_mfma_f32_16x16x32_bf16 v[70:73], a[164:167], v[42:45], v[70:73]// 00000000A43C: D3B50046 0D1A55A4
	v_mfma_f32_16x16x32_bf16 v[74:77], a[168:171], v[42:45], v[74:77]// 00000000A444: D3B5004A 0D2A55A8
	v_mfma_f32_16x16x32_bf16 v[78:81], a[172:175], v[42:45], v[78:81]// 00000000A44C: D3B5004E 0D3A55AC
	v_mfma_f32_16x16x32_bf16 v[82:85], a[176:179], v[42:45], v[82:85]// 00000000A454: D3B50052 0D4A55B0
	v_mfma_f32_16x16x32_bf16 v[86:89], a[180:183], v[42:45], v[86:89]// 00000000A45C: D3B50056 0D5A55B4
	v_mfma_f32_16x16x32_bf16 v[90:93], a[184:187], v[42:45], v[90:93]// 00000000A464: D3B5005A 0D6A55B8
	v_mfma_f32_16x16x32_bf16 v[94:97], a[188:191], v[42:45], v[94:97]// 00000000A46C: D3B5005E 0D7A55BC
	v_mfma_f32_16x16x32_bf16 v[98:101], a[192:195], v[42:45], v[98:101]// 00000000A474: D3B50062 0D8A55C0
	v_mfma_f32_16x16x32_bf16 v[102:105], a[196:199], v[42:45], v[102:105]// 00000000A47C: D3B50066 0D9A55C4
	v_mfma_f32_16x16x32_bf16 v[106:109], a[200:203], v[42:45], v[106:109]// 00000000A484: D3B5006A 0DAA55C8
	v_mfma_f32_16x16x32_bf16 v[110:113], a[204:207], v[42:45], v[110:113]// 00000000A48C: D3B5006E 0DBA55CC
	ds_read_b64_tr_b16 a[144:145], v10 offset:8192             // 00000000A494: DBC62000 9000000A
	ds_read_b64_tr_b16 a[146:147], v10 offset:8448             // 00000000A49C: DBC62100 9200000A
	ds_read_b64_tr_b16 a[148:149], v11 offset:8192             // 00000000A4A4: DBC62000 9400000B
	ds_read_b64_tr_b16 a[150:151], v11 offset:8448             // 00000000A4AC: DBC62100 9600000B
	ds_read_b64_tr_b16 a[152:153], v10 offset:9216             // 00000000A4B4: DBC62400 9800000A
	ds_read_b64_tr_b16 a[154:155], v10 offset:9472             // 00000000A4BC: DBC62500 9A00000A
	ds_read_b64_tr_b16 a[156:157], v11 offset:9216             // 00000000A4C4: DBC62400 9C00000B
	ds_read_b64_tr_b16 a[158:159], v11 offset:9472             // 00000000A4CC: DBC62500 9E00000B
	ds_read_b64_tr_b16 a[160:161], v10 offset:10240            // 00000000A4D4: DBC62800 A000000A
	ds_read_b64_tr_b16 a[162:163], v10 offset:10496            // 00000000A4DC: DBC62900 A200000A
	ds_read_b64_tr_b16 a[164:165], v11 offset:10240            // 00000000A4E4: DBC62800 A400000B
	ds_read_b64_tr_b16 a[166:167], v11 offset:10496            // 00000000A4EC: DBC62900 A600000B
	ds_read_b64_tr_b16 a[168:169], v10 offset:11264            // 00000000A4F4: DBC62C00 A800000A
	ds_read_b64_tr_b16 a[170:171], v10 offset:11520            // 00000000A4FC: DBC62D00 AA00000A
	ds_read_b64_tr_b16 a[172:173], v11 offset:11264            // 00000000A504: DBC62C00 AC00000B
	ds_read_b64_tr_b16 a[174:175], v11 offset:11520            // 00000000A50C: DBC62D00 AE00000B
	ds_read_b64_tr_b16 a[176:177], v10 offset:12288            // 00000000A514: DBC63000 B000000A
	ds_read_b64_tr_b16 a[178:179], v10 offset:12544            // 00000000A51C: DBC63100 B200000A
	ds_read_b64_tr_b16 a[180:181], v11 offset:12288            // 00000000A524: DBC63000 B400000B
	ds_read_b64_tr_b16 a[182:183], v11 offset:12544            // 00000000A52C: DBC63100 B600000B
	ds_read_b64_tr_b16 a[184:185], v10 offset:13312            // 00000000A534: DBC63400 B800000A
	ds_read_b64_tr_b16 a[186:187], v10 offset:13568            // 00000000A53C: DBC63500 BA00000A
	ds_read_b64_tr_b16 a[188:189], v11 offset:13312            // 00000000A544: DBC63400 BC00000B
	ds_read_b64_tr_b16 a[190:191], v11 offset:13568            // 00000000A54C: DBC63500 BE00000B
	ds_read_b64_tr_b16 a[192:193], v10 offset:14336            // 00000000A554: DBC63800 C000000A
	ds_read_b64_tr_b16 a[194:195], v10 offset:14592            // 00000000A55C: DBC63900 C200000A
	ds_read_b64_tr_b16 a[196:197], v11 offset:14336            // 00000000A564: DBC63800 C400000B
	ds_read_b64_tr_b16 a[198:199], v11 offset:14592            // 00000000A56C: DBC63900 C600000B
	ds_read_b64_tr_b16 a[200:201], v10 offset:15360            // 00000000A574: DBC63C00 C800000A
	ds_read_b64_tr_b16 a[202:203], v10 offset:15616            // 00000000A57C: DBC63D00 CA00000A
	ds_read_b64_tr_b16 a[204:205], v11 offset:15360            // 00000000A584: DBC63C00 CC00000B
	ds_read_b64_tr_b16 a[206:207], v11 offset:15616            // 00000000A58C: DBC63D00 CE00000B
	s_waitcnt lgkmcnt(0)                                       // 00000000A594: BF8CC07F
	v_mfma_f32_16x16x32_bf16 v[114:117], a[144:147], v[42:45], v[114:117]// 00000000A598: D3B50072 0DCA5590
	v_mfma_f32_16x16x32_bf16 v[118:121], a[148:151], v[42:45], v[118:121]// 00000000A5A0: D3B50076 0DDA5594
	v_mfma_f32_16x16x32_bf16 v[122:125], a[152:155], v[42:45], v[122:125]// 00000000A5A8: D3B5007A 0DEA5598
	v_mfma_f32_16x16x32_bf16 v[126:129], a[156:159], v[42:45], v[126:129]// 00000000A5B0: D3B5007E 0DFA559C
	v_mfma_f32_16x16x32_bf16 v[130:133], a[160:163], v[42:45], v[130:133]// 00000000A5B8: D3B50082 0E0A55A0
	v_mfma_f32_16x16x32_bf16 v[134:137], a[164:167], v[42:45], v[134:137]// 00000000A5C0: D3B50086 0E1A55A4
	v_mfma_f32_16x16x32_bf16 v[138:141], a[168:171], v[42:45], v[138:141]// 00000000A5C8: D3B5008A 0E2A55A8
	v_mfma_f32_16x16x32_bf16 v[142:145], a[172:175], v[42:45], v[142:145]// 00000000A5D0: D3B5008E 0E3A55AC
	v_mfma_f32_16x16x32_bf16 v[146:149], a[176:179], v[42:45], v[146:149]// 00000000A5D8: D3B50092 0E4A55B0
	v_mfma_f32_16x16x32_bf16 v[150:153], a[180:183], v[42:45], v[150:153]// 00000000A5E0: D3B50096 0E5A55B4
	v_mfma_f32_16x16x32_bf16 v[154:157], a[184:187], v[42:45], v[154:157]// 00000000A5E8: D3B5009A 0E6A55B8
	v_mfma_f32_16x16x32_bf16 v[158:161], a[188:191], v[42:45], v[158:161]// 00000000A5F0: D3B5009E 0E7A55BC
	v_mfma_f32_16x16x32_bf16 v[162:165], a[192:195], v[42:45], v[162:165]// 00000000A5F8: D3B500A2 0E8A55C0
	v_mfma_f32_16x16x32_bf16 v[166:169], a[196:199], v[42:45], v[166:169]// 00000000A600: D3B500A6 0E9A55C4
	v_mfma_f32_16x16x32_bf16 v[170:173], a[200:203], v[42:45], v[170:173]// 00000000A608: D3B500AA 0EAA55C8
	v_mfma_f32_16x16x32_bf16 v[174:177], a[204:207], v[42:45], v[174:177]// 00000000A610: D3B500AE 0EBA55CC
	ds_read_b64_tr_b16 a[144:145], v12                         // 00000000A618: DBC60000 9000000C
	ds_read_b64_tr_b16 a[146:147], v12 offset:256              // 00000000A620: DBC60100 9200000C
	ds_read_b64_tr_b16 a[148:149], v13                         // 00000000A628: DBC60000 9400000D
	ds_read_b64_tr_b16 a[150:151], v13 offset:256              // 00000000A630: DBC60100 9600000D
	ds_read_b64_tr_b16 a[152:153], v12 offset:1024             // 00000000A638: DBC60400 9800000C
	ds_read_b64_tr_b16 a[154:155], v12 offset:1280             // 00000000A640: DBC60500 9A00000C
	ds_read_b64_tr_b16 a[156:157], v13 offset:1024             // 00000000A648: DBC60400 9C00000D
	ds_read_b64_tr_b16 a[158:159], v13 offset:1280             // 00000000A650: DBC60500 9E00000D
	ds_read_b64_tr_b16 a[160:161], v12 offset:2048             // 00000000A658: DBC60800 A000000C
	ds_read_b64_tr_b16 a[162:163], v12 offset:2304             // 00000000A660: DBC60900 A200000C
	ds_read_b64_tr_b16 a[164:165], v13 offset:2048             // 00000000A668: DBC60800 A400000D
	ds_read_b64_tr_b16 a[166:167], v13 offset:2304             // 00000000A670: DBC60900 A600000D
	ds_read_b64_tr_b16 a[168:169], v12 offset:3072             // 00000000A678: DBC60C00 A800000C
	ds_read_b64_tr_b16 a[170:171], v12 offset:3328             // 00000000A680: DBC60D00 AA00000C
	ds_read_b64_tr_b16 a[172:173], v13 offset:3072             // 00000000A688: DBC60C00 AC00000D
	ds_read_b64_tr_b16 a[174:175], v13 offset:3328             // 00000000A690: DBC60D00 AE00000D
	ds_read_b64_tr_b16 a[176:177], v12 offset:4096             // 00000000A698: DBC61000 B000000C
	ds_read_b64_tr_b16 a[178:179], v12 offset:4352             // 00000000A6A0: DBC61100 B200000C
	ds_read_b64_tr_b16 a[180:181], v13 offset:4096             // 00000000A6A8: DBC61000 B400000D
	ds_read_b64_tr_b16 a[182:183], v13 offset:4352             // 00000000A6B0: DBC61100 B600000D
	ds_read_b64_tr_b16 a[184:185], v12 offset:5120             // 00000000A6B8: DBC61400 B800000C
	ds_read_b64_tr_b16 a[186:187], v12 offset:5376             // 00000000A6C0: DBC61500 BA00000C
	ds_read_b64_tr_b16 a[188:189], v13 offset:5120             // 00000000A6C8: DBC61400 BC00000D
	ds_read_b64_tr_b16 a[190:191], v13 offset:5376             // 00000000A6D0: DBC61500 BE00000D
	ds_read_b64_tr_b16 a[192:193], v12 offset:6144             // 00000000A6D8: DBC61800 C000000C
	ds_read_b64_tr_b16 a[194:195], v12 offset:6400             // 00000000A6E0: DBC61900 C200000C
	ds_read_b64_tr_b16 a[196:197], v13 offset:6144             // 00000000A6E8: DBC61800 C400000D
	ds_read_b64_tr_b16 a[198:199], v13 offset:6400             // 00000000A6F0: DBC61900 C600000D
	ds_read_b64_tr_b16 a[200:201], v12 offset:7168             // 00000000A6F8: DBC61C00 C800000C
	ds_read_b64_tr_b16 a[202:203], v12 offset:7424             // 00000000A700: DBC61D00 CA00000C
	ds_read_b64_tr_b16 a[204:205], v13 offset:7168             // 00000000A708: DBC61C00 CC00000D
	ds_read_b64_tr_b16 a[206:207], v13 offset:7424             // 00000000A710: DBC61D00 CE00000D
	v_mov_b32_e32 v30, v16                                     // 00000000A718: 7E3C0310
	v_mov_b32_e32 v31, v16                                     // 00000000A71C: 7E3E0310
	v_pk_mul_f32 v[50:51], v[30:31], v[50:51]                  // 00000000A720: D3B14032 1802651E
	v_pk_mul_f32 v[52:53], v[30:31], v[52:53]                  // 00000000A728: D3B14034 1802691E
	v_pk_mul_f32 v[54:55], v[30:31], v[54:55]                  // 00000000A730: D3B14036 18026D1E
	v_pk_mul_f32 v[56:57], v[30:31], v[56:57]                  // 00000000A738: D3B14038 1802711E
	v_pk_mul_f32 v[58:59], v[30:31], v[58:59]                  // 00000000A740: D3B1403A 1802751E
	v_pk_mul_f32 v[60:61], v[30:31], v[60:61]                  // 00000000A748: D3B1403C 1802791E
	v_pk_mul_f32 v[62:63], v[30:31], v[62:63]                  // 00000000A750: D3B1403E 18027D1E
	v_pk_mul_f32 v[64:65], v[30:31], v[64:65]                  // 00000000A758: D3B14040 1802811E
	v_pk_mul_f32 v[66:67], v[30:31], v[66:67]                  // 00000000A760: D3B14042 1802851E
	v_pk_mul_f32 v[68:69], v[30:31], v[68:69]                  // 00000000A768: D3B14044 1802891E
	v_pk_mul_f32 v[70:71], v[30:31], v[70:71]                  // 00000000A770: D3B14046 18028D1E
	v_pk_mul_f32 v[72:73], v[30:31], v[72:73]                  // 00000000A778: D3B14048 1802911E
	v_pk_mul_f32 v[74:75], v[30:31], v[74:75]                  // 00000000A780: D3B1404A 1802951E
	v_pk_mul_f32 v[76:77], v[30:31], v[76:77]                  // 00000000A788: D3B1404C 1802991E
	v_pk_mul_f32 v[78:79], v[30:31], v[78:79]                  // 00000000A790: D3B1404E 18029D1E
	v_pk_mul_f32 v[80:81], v[30:31], v[80:81]                  // 00000000A798: D3B14050 1802A11E
	v_pk_mul_f32 v[82:83], v[30:31], v[82:83]                  // 00000000A7A0: D3B14052 1802A51E
	v_pk_mul_f32 v[84:85], v[30:31], v[84:85]                  // 00000000A7A8: D3B14054 1802A91E
	v_pk_mul_f32 v[86:87], v[30:31], v[86:87]                  // 00000000A7B0: D3B14056 1802AD1E
	v_pk_mul_f32 v[88:89], v[30:31], v[88:89]                  // 00000000A7B8: D3B14058 1802B11E
	v_pk_mul_f32 v[90:91], v[30:31], v[90:91]                  // 00000000A7C0: D3B1405A 1802B51E
	v_pk_mul_f32 v[92:93], v[30:31], v[92:93]                  // 00000000A7C8: D3B1405C 1802B91E
	v_pk_mul_f32 v[94:95], v[30:31], v[94:95]                  // 00000000A7D0: D3B1405E 1802BD1E
	v_pk_mul_f32 v[96:97], v[30:31], v[96:97]                  // 00000000A7D8: D3B14060 1802C11E
	v_pk_mul_f32 v[98:99], v[30:31], v[98:99]                  // 00000000A7E0: D3B14062 1802C51E
	v_pk_mul_f32 v[100:101], v[30:31], v[100:101]              // 00000000A7E8: D3B14064 1802C91E
	v_pk_mul_f32 v[102:103], v[30:31], v[102:103]              // 00000000A7F0: D3B14066 1802CD1E
	v_pk_mul_f32 v[104:105], v[30:31], v[104:105]              // 00000000A7F8: D3B14068 1802D11E
	v_pk_mul_f32 v[106:107], v[30:31], v[106:107]              // 00000000A800: D3B1406A 1802D51E
	v_pk_mul_f32 v[108:109], v[30:31], v[108:109]              // 00000000A808: D3B1406C 1802D91E
	v_pk_mul_f32 v[110:111], v[30:31], v[110:111]              // 00000000A810: D3B1406E 1802DD1E
	v_pk_mul_f32 v[112:113], v[30:31], v[112:113]              // 00000000A818: D3B14070 1802E11E
	v_pk_mul_f32 v[114:115], v[30:31], v[114:115]              // 00000000A820: D3B14072 1802E51E
	v_pk_mul_f32 v[116:117], v[30:31], v[116:117]              // 00000000A828: D3B14074 1802E91E
	v_pk_mul_f32 v[118:119], v[30:31], v[118:119]              // 00000000A830: D3B14076 1802ED1E
	v_pk_mul_f32 v[120:121], v[30:31], v[120:121]              // 00000000A838: D3B14078 1802F11E
	v_pk_mul_f32 v[122:123], v[30:31], v[122:123]              // 00000000A840: D3B1407A 1802F51E
	v_pk_mul_f32 v[124:125], v[30:31], v[124:125]              // 00000000A848: D3B1407C 1802F91E
	v_pk_mul_f32 v[126:127], v[30:31], v[126:127]              // 00000000A850: D3B1407E 1802FD1E
	v_pk_mul_f32 v[128:129], v[30:31], v[128:129]              // 00000000A858: D3B14080 1803011E
	v_pk_mul_f32 v[130:131], v[30:31], v[130:131]              // 00000000A860: D3B14082 1803051E
	v_pk_mul_f32 v[132:133], v[30:31], v[132:133]              // 00000000A868: D3B14084 1803091E
	v_pk_mul_f32 v[134:135], v[30:31], v[134:135]              // 00000000A870: D3B14086 18030D1E
	v_pk_mul_f32 v[136:137], v[30:31], v[136:137]              // 00000000A878: D3B14088 1803111E
	v_pk_mul_f32 v[138:139], v[30:31], v[138:139]              // 00000000A880: D3B1408A 1803151E
	v_pk_mul_f32 v[140:141], v[30:31], v[140:141]              // 00000000A888: D3B1408C 1803191E
	v_pk_mul_f32 v[142:143], v[30:31], v[142:143]              // 00000000A890: D3B1408E 18031D1E
	v_pk_mul_f32 v[144:145], v[30:31], v[144:145]              // 00000000A898: D3B14090 1803211E
	v_pk_mul_f32 v[146:147], v[30:31], v[146:147]              // 00000000A8A0: D3B14092 1803251E
	v_pk_mul_f32 v[148:149], v[30:31], v[148:149]              // 00000000A8A8: D3B14094 1803291E
	v_pk_mul_f32 v[150:151], v[30:31], v[150:151]              // 00000000A8B0: D3B14096 18032D1E
	v_pk_mul_f32 v[152:153], v[30:31], v[152:153]              // 00000000A8B8: D3B14098 1803311E
	v_pk_mul_f32 v[154:155], v[30:31], v[154:155]              // 00000000A8C0: D3B1409A 1803351E
	v_pk_mul_f32 v[156:157], v[30:31], v[156:157]              // 00000000A8C8: D3B1409C 1803391E
	v_pk_mul_f32 v[158:159], v[30:31], v[158:159]              // 00000000A8D0: D3B1409E 18033D1E
	v_pk_mul_f32 v[160:161], v[30:31], v[160:161]              // 00000000A8D8: D3B140A0 1803411E
	v_pk_mul_f32 v[162:163], v[30:31], v[162:163]              // 00000000A8E0: D3B140A2 1803451E
	v_pk_mul_f32 v[164:165], v[30:31], v[164:165]              // 00000000A8E8: D3B140A4 1803491E
	v_pk_mul_f32 v[166:167], v[30:31], v[166:167]              // 00000000A8F0: D3B140A6 18034D1E
	v_pk_mul_f32 v[168:169], v[30:31], v[168:169]              // 00000000A8F8: D3B140A8 1803511E
	v_pk_mul_f32 v[170:171], v[30:31], v[170:171]              // 00000000A900: D3B140AA 1803551E
	v_pk_mul_f32 v[172:173], v[30:31], v[172:173]              // 00000000A908: D3B140AC 1803591E
	v_pk_mul_f32 v[174:175], v[30:31], v[174:175]              // 00000000A910: D3B140AE 18035D1E
	v_pk_mul_f32 v[176:177], v[30:31], v[176:177]              // 00000000A918: D3B140B0 1803611E
	s_waitcnt lgkmcnt(4)                                       // 00000000A920: BF8CC47F
	v_mfma_f32_16x16x32_bf16 v[50:53], a[144:147], v[34:37], v[50:53]// 00000000A924: D3B50032 0CCA4590
	v_mfma_f32_16x16x32_bf16 v[54:57], a[148:151], v[34:37], v[54:57]// 00000000A92C: D3B50036 0CDA4594
	v_mfma_f32_16x16x32_bf16 v[58:61], a[152:155], v[34:37], v[58:61]// 00000000A934: D3B5003A 0CEA4598
	v_mfma_f32_16x16x32_bf16 v[62:65], a[156:159], v[34:37], v[62:65]// 00000000A93C: D3B5003E 0CFA459C
	v_mfma_f32_16x16x32_bf16 v[66:69], a[160:163], v[34:37], v[66:69]// 00000000A944: D3B50042 0D0A45A0
	v_mfma_f32_16x16x32_bf16 v[70:73], a[164:167], v[34:37], v[70:73]// 00000000A94C: D3B50046 0D1A45A4
	v_mfma_f32_16x16x32_bf16 v[74:77], a[168:171], v[34:37], v[74:77]// 00000000A954: D3B5004A 0D2A45A8
	v_mfma_f32_16x16x32_bf16 v[78:81], a[172:175], v[34:37], v[78:81]// 00000000A95C: D3B5004E 0D3A45AC
	v_mfma_f32_16x16x32_bf16 v[82:85], a[176:179], v[34:37], v[82:85]// 00000000A964: D3B50052 0D4A45B0
	v_mfma_f32_16x16x32_bf16 v[86:89], a[180:183], v[34:37], v[86:89]// 00000000A96C: D3B50056 0D5A45B4
	v_mfma_f32_16x16x32_bf16 v[90:93], a[184:187], v[34:37], v[90:93]// 00000000A974: D3B5005A 0D6A45B8
	v_mfma_f32_16x16x32_bf16 v[94:97], a[188:191], v[34:37], v[94:97]// 00000000A97C: D3B5005E 0D7A45BC
	v_mfma_f32_16x16x32_bf16 v[98:101], a[192:195], v[34:37], v[98:101]// 00000000A984: D3B50062 0D8A45C0
	v_mfma_f32_16x16x32_bf16 v[102:105], a[196:199], v[34:37], v[102:105]// 00000000A98C: D3B50066 0D9A45C4
	v_mfma_f32_16x16x32_bf16 v[106:109], a[200:203], v[34:37], v[106:109]// 00000000A994: D3B5006A 0DAA45C8
	v_mfma_f32_16x16x32_bf16 v[110:113], a[204:207], v[34:37], v[110:113]// 00000000A99C: D3B5006E 0DBA45CC
	ds_read_b64_tr_b16 a[144:145], v12 offset:8192             // 00000000A9A4: DBC62000 9000000C
	ds_read_b64_tr_b16 a[146:147], v12 offset:8448             // 00000000A9AC: DBC62100 9200000C
	ds_read_b64_tr_b16 a[148:149], v13 offset:8192             // 00000000A9B4: DBC62000 9400000D
	ds_read_b64_tr_b16 a[150:151], v13 offset:8448             // 00000000A9BC: DBC62100 9600000D
	ds_read_b64_tr_b16 a[152:153], v12 offset:9216             // 00000000A9C4: DBC62400 9800000C
	ds_read_b64_tr_b16 a[154:155], v12 offset:9472             // 00000000A9CC: DBC62500 9A00000C
	ds_read_b64_tr_b16 a[156:157], v13 offset:9216             // 00000000A9D4: DBC62400 9C00000D
	ds_read_b64_tr_b16 a[158:159], v13 offset:9472             // 00000000A9DC: DBC62500 9E00000D
	ds_read_b64_tr_b16 a[160:161], v12 offset:10240            // 00000000A9E4: DBC62800 A000000C
	ds_read_b64_tr_b16 a[162:163], v12 offset:10496            // 00000000A9EC: DBC62900 A200000C
	ds_read_b64_tr_b16 a[164:165], v13 offset:10240            // 00000000A9F4: DBC62800 A400000D
	ds_read_b64_tr_b16 a[166:167], v13 offset:10496            // 00000000A9FC: DBC62900 A600000D
	ds_read_b64_tr_b16 a[168:169], v12 offset:11264            // 00000000AA04: DBC62C00 A800000C
	ds_read_b64_tr_b16 a[170:171], v12 offset:11520            // 00000000AA0C: DBC62D00 AA00000C
	ds_read_b64_tr_b16 a[172:173], v13 offset:11264            // 00000000AA14: DBC62C00 AC00000D
	ds_read_b64_tr_b16 a[174:175], v13 offset:11520            // 00000000AA1C: DBC62D00 AE00000D
	ds_read_b64_tr_b16 a[176:177], v12 offset:12288            // 00000000AA24: DBC63000 B000000C
	ds_read_b64_tr_b16 a[178:179], v12 offset:12544            // 00000000AA2C: DBC63100 B200000C
	ds_read_b64_tr_b16 a[180:181], v13 offset:12288            // 00000000AA34: DBC63000 B400000D
	ds_read_b64_tr_b16 a[182:183], v13 offset:12544            // 00000000AA3C: DBC63100 B600000D
	ds_read_b64_tr_b16 a[184:185], v12 offset:13312            // 00000000AA44: DBC63400 B800000C
	ds_read_b64_tr_b16 a[186:187], v12 offset:13568            // 00000000AA4C: DBC63500 BA00000C
	ds_read_b64_tr_b16 a[188:189], v13 offset:13312            // 00000000AA54: DBC63400 BC00000D
	ds_read_b64_tr_b16 a[190:191], v13 offset:13568            // 00000000AA5C: DBC63500 BE00000D
	ds_read_b64_tr_b16 a[192:193], v12 offset:14336            // 00000000AA64: DBC63800 C000000C
	ds_read_b64_tr_b16 a[194:195], v12 offset:14592            // 00000000AA6C: DBC63900 C200000C
	ds_read_b64_tr_b16 a[196:197], v13 offset:14336            // 00000000AA74: DBC63800 C400000D
	ds_read_b64_tr_b16 a[198:199], v13 offset:14592            // 00000000AA7C: DBC63900 C600000D
	ds_read_b64_tr_b16 a[200:201], v12 offset:15360            // 00000000AA84: DBC63C00 C800000C
	ds_read_b64_tr_b16 a[202:203], v12 offset:15616            // 00000000AA8C: DBC63D00 CA00000C
	ds_read_b64_tr_b16 a[204:205], v13 offset:15360            // 00000000AA94: DBC63C00 CC00000D
	ds_read_b64_tr_b16 a[206:207], v13 offset:15616            // 00000000AA9C: DBC63D00 CE00000D
	s_waitcnt vmcnt(0)                                         // 00000000AAA4: BF8C0F70
	s_barrier                                                  // 00000000AAA8: BF8A0000
	s_waitcnt lgkmcnt(0)                                       // 00000000AAAC: BF8CC07F
	v_mfma_f32_16x16x32_bf16 v[114:117], a[144:147], v[34:37], v[114:117]// 00000000AAB0: D3B50072 0DCA4590
	ds_read_b128 a[72:75], v21                                 // 00000000AAB8: DBFE0000 48000015
	ds_read_b128 a[76:79], v21 offset:1024                     // 00000000AAC0: DBFE0400 4C000015
	v_mfma_f32_16x16x32_bf16 v[118:121], a[148:151], v[34:37], v[118:121]// 00000000AAC8: D3B50076 0DDA4594
	ds_read_b128 a[80:83], v21 offset:2048                     // 00000000AAD0: DBFE0800 50000015
	ds_read_b128 a[84:87], v21 offset:3072                     // 00000000AAD8: DBFE0C00 54000015
	v_mfma_f32_16x16x32_bf16 v[122:125], a[152:155], v[34:37], v[122:125]// 00000000AAE0: D3B5007A 0DEA4598
	ds_read_b128 a[88:91], v21 offset:4096                     // 00000000AAE8: DBFE1000 58000015
	ds_read_b128 a[92:95], v21 offset:5120                     // 00000000AAF0: DBFE1400 5C000015
	v_mfma_f32_16x16x32_bf16 v[126:129], a[156:159], v[34:37], v[126:129]// 00000000AAF8: D3B5007E 0DFA459C
	ds_read_b128 a[96:99], v21 offset:6144                     // 00000000AB00: DBFE1800 60000015
	ds_read_b128 a[100:103], v21 offset:7168                   // 00000000AB08: DBFE1C00 64000015
	v_mfma_f32_16x16x32_bf16 v[130:133], a[160:163], v[34:37], v[130:133]// 00000000AB10: D3B50082 0E0A45A0
	ds_read_b128 a[104:107], v21 offset:8192                   // 00000000AB18: DBFE2000 68000015
	ds_read_b128 a[108:111], v21 offset:9216                   // 00000000AB20: DBFE2400 6C000015
	v_mfma_f32_16x16x32_bf16 v[134:137], a[164:167], v[34:37], v[134:137]// 00000000AB28: D3B50086 0E1A45A4
	ds_read_b128 a[112:115], v21 offset:10240                  // 00000000AB30: DBFE2800 70000015
	ds_read_b128 a[116:119], v21 offset:11264                  // 00000000AB38: DBFE2C00 74000015
	v_mfma_f32_16x16x32_bf16 v[138:141], a[168:171], v[34:37], v[138:141]// 00000000AB40: D3B5008A 0E2A45A8
	ds_read_b128 a[120:123], v21 offset:12288                  // 00000000AB48: DBFE3000 78000015
	ds_read_b128 a[124:127], v21 offset:13312                  // 00000000AB50: DBFE3400 7C000015
	v_mfma_f32_16x16x32_bf16 v[142:145], a[172:175], v[34:37], v[142:145]// 00000000AB58: D3B5008E 0E3A45AC
	ds_read_b128 a[128:131], v21 offset:14336                  // 00000000AB60: DBFE3800 80000015
	ds_read_b128 a[132:135], v21 offset:15360                  // 00000000AB68: DBFE3C00 84000015
	v_mfma_f32_16x16x32_bf16 v[146:149], a[176:179], v[34:37], v[146:149]// 00000000AB70: D3B50092 0E4A45B0
	ds_read_b128 a[136:139], v21 offset:16384                  // 00000000AB78: DBFE4000 88000015
	ds_read_b128 a[140:143], v21 offset:17408                  // 00000000AB80: DBFE4400 8C000015
	v_mfma_f32_16x16x32_bf16 v[150:153], a[180:183], v[34:37], v[150:153]// 00000000AB88: D3B50096 0E5A45B4
	v_mfma_f32_16x16x32_bf16 v[154:157], a[184:187], v[34:37], v[154:157]// 00000000AB90: D3B5009A 0E6A45B8
	v_mfma_f32_16x16x32_bf16 v[158:161], a[188:191], v[34:37], v[158:161]// 00000000AB98: D3B5009E 0E7A45BC
	v_mfma_f32_16x16x32_bf16 v[162:165], a[192:195], v[34:37], v[162:165]// 00000000ABA0: D3B500A2 0E8A45C0
	v_mfma_f32_16x16x32_bf16 v[166:169], a[196:199], v[34:37], v[166:169]// 00000000ABA8: D3B500A6 0E9A45C4
	v_mfma_f32_16x16x32_bf16 v[170:173], a[200:203], v[34:37], v[170:173]// 00000000ABB0: D3B500AA 0EAA45C8
	v_mfma_f32_16x16x32_bf16 v[174:177], a[204:207], v[34:37], v[174:177]// 00000000ABB8: D3B500AE 0EBA45CC
	s_branch label_86C4                                        // 00000000ABC0: BF820000

000000000000abc4 <label_86C4>:
	s_cmp_eq_i32 s48, 0                                        // 00000000ABC4: BF008030
	s_cbranch_scc1 label_AD18                                  // 00000000ABC8: BF850911

000000000000abcc <label_86CC>:
	s_and_b32 s56, 3, s71                                      // 00000000ABCC: 86384783
	s_cmp_eq_i32 s56, 0                                        // 00000000ABD0: BF008038
	s_cbranch_scc1 label_9900                                  // 00000000ABD4: BF85048A
	s_cmp_eq_i32 s56, 1                                        // 00000000ABD8: BF008138
	s_cbranch_scc1 label_A208                                  // 00000000ABDC: BF8506CA
	s_cmp_eq_i32 s56, 3                                        // 00000000ABE0: BF008338
	s_cbranch_scc1 label_8FF8                                  // 00000000ABE4: BF850244
	s_cmp_eq_i32 s56, 2                                        // 00000000ABE8: BF008238
	s_cbranch_scc1 label_86F0                                  // 00000000ABEC: BF850000

000000000000abf0 <label_86F0>:
	s_waitcnt lgkmcnt(0)                                       // 00000000ABF0: BF8CC07F
	v_mfma_f32_16x16x32_bf16 v[34:37], a[72:75], a[0:3], 0     // 00000000ABF4: D3B50022 1A020148
	v_mfma_f32_16x16x32_bf16 v[34:37], a[76:79], a[4:7], v[34:37]// 00000000ABFC: D3B50022 1C8A094C
	v_mfma_f32_16x16x32_bf16 v[34:37], a[80:83], a[8:11], v[34:37]// 00000000AC04: D3B50022 1C8A1150
	v_mfma_f32_16x16x32_bf16 v[34:37], a[84:87], a[12:15], v[34:37]// 00000000AC0C: D3B50022 1C8A1954
	v_mfma_f32_16x16x32_bf16 v[34:37], a[88:91], a[16:19], v[34:37]// 00000000AC14: D3B50022 1C8A2158
	v_mfma_f32_16x16x32_bf16 v[34:37], a[92:95], a[20:23], v[34:37]// 00000000AC1C: D3B50022 1C8A295C
	v_mfma_f32_16x16x32_bf16 v[34:37], a[96:99], a[24:27], v[34:37]// 00000000AC24: D3B50022 1C8A3160
	v_mfma_f32_16x16x32_bf16 v[34:37], a[100:103], a[28:31], v[34:37]// 00000000AC2C: D3B50022 1C8A3964
	ds_read_b128 a[72:75], v18 offset:18432                    // 00000000AC34: DBFE4800 48000012
	ds_read_b128 a[76:79], v18 offset:19456                    // 00000000AC3C: DBFE4C00 4C000012
	v_mfma_f32_16x16x32_bf16 v[34:37], a[104:107], a[32:35], v[34:37]// 00000000AC44: D3B50022 1C8A4168
	v_mfma_f32_16x16x32_bf16 v[34:37], a[108:111], a[36:39], v[34:37]// 00000000AC4C: D3B50022 1C8A496C
	ds_read_b128 a[80:83], v18 offset:20480                    // 00000000AC54: DBFE5000 50000012
	ds_read_b128 a[84:87], v18 offset:21504                    // 00000000AC5C: DBFE5400 54000012
	v_mfma_f32_16x16x32_bf16 v[34:37], a[112:115], a[40:43], v[34:37]// 00000000AC64: D3B50022 1C8A5170
	v_mfma_f32_16x16x32_bf16 v[34:37], a[116:119], a[44:47], v[34:37]// 00000000AC6C: D3B50022 1C8A5974
	ds_read_b128 a[88:91], v18 offset:22528                    // 00000000AC74: DBFE5800 58000012
	ds_read_b128 a[92:95], v18 offset:23552                    // 00000000AC7C: DBFE5C00 5C000012
	v_mfma_f32_16x16x32_bf16 v[34:37], a[120:123], a[48:51], v[34:37]// 00000000AC84: D3B50022 1C8A6178
	v_mfma_f32_16x16x32_bf16 v[34:37], a[124:127], a[52:55], v[34:37]// 00000000AC8C: D3B50022 1C8A697C
	ds_read_b128 a[96:99], v18 offset:24576                    // 00000000AC94: DBFE6000 60000012
	ds_read_b128 a[100:103], v18 offset:25600                  // 00000000AC9C: DBFE6400 64000012
	v_mfma_f32_16x16x32_bf16 v[34:37], a[128:131], a[56:59], v[34:37]// 00000000ACA4: D3B50022 1C8A7180
	v_mfma_f32_16x16x32_bf16 v[34:37], a[132:135], a[60:63], v[34:37]// 00000000ACAC: D3B50022 1C8A7984
	ds_read_b128 a[104:107], v18 offset:26624                  // 00000000ACB4: DBFE6800 68000012
	ds_read_b128 a[108:111], v18 offset:27648                  // 00000000ACBC: DBFE6C00 6C000012
	v_mfma_f32_16x16x32_bf16 v[34:37], a[136:139], a[64:67], v[34:37]// 00000000ACC4: D3B50022 1C8A8188
	v_mfma_f32_16x16x32_bf16 v[34:37], a[140:143], a[68:71], v[34:37]// 00000000ACCC: D3B50022 1C8A898C
	ds_read_b128 a[112:115], v18 offset:28672                  // 00000000ACD4: DBFE7000 70000012
	ds_read_b128 a[116:119], v18 offset:29696                  // 00000000ACDC: DBFE7400 74000012
	ds_read_b128 a[120:123], v18 offset:30720                  // 00000000ACE4: DBFE7800 78000012
	ds_read_b128 a[124:127], v18 offset:31744                  // 00000000ACEC: DBFE7C00 7C000012
	ds_read_b128 a[128:131], v18 offset:32768                  // 00000000ACF4: DBFE8000 80000012
	ds_read_b128 a[132:135], v18 offset:33792                  // 00000000ACFC: DBFE8400 84000012
	ds_read_b128 a[136:139], v18 offset:34816                  // 00000000AD04: DBFE8800 88000012
	ds_read_b128 a[140:143], v18 offset:35840                  // 00000000AD0C: DBFE8C00 8C000012
	s_waitcnt lgkmcnt(0)                                       // 00000000AD14: BF8CC07F
	v_mfma_f32_16x16x32_bf16 v[38:41], a[72:75], a[0:3], 0     // 00000000AD18: D3B50026 1A020148
	ds_read_b64_tr_b16 a[144:145], v8                          // 00000000AD20: DBC60000 90000008
	ds_read_b64_tr_b16 a[146:147], v8 offset:256               // 00000000AD28: DBC60100 92000008
	ds_read_b64_tr_b16 a[148:149], v9                          // 00000000AD30: DBC60000 94000009
	ds_read_b64_tr_b16 a[150:151], v9 offset:256               // 00000000AD38: DBC60100 96000009
	v_mfma_f32_16x16x32_bf16 v[38:41], a[76:79], a[4:7], v[38:41]// 00000000AD40: D3B50026 1C9A094C
	ds_read_b64_tr_b16 a[152:153], v8 offset:1024              // 00000000AD48: DBC60400 98000008
	ds_read_b64_tr_b16 a[154:155], v8 offset:1280              // 00000000AD50: DBC60500 9A000008
	ds_read_b64_tr_b16 a[156:157], v9 offset:1024              // 00000000AD58: DBC60400 9C000009
	ds_read_b64_tr_b16 a[158:159], v9 offset:1280              // 00000000AD60: DBC60500 9E000009
	v_mfma_f32_16x16x32_bf16 v[38:41], a[80:83], a[8:11], v[38:41]// 00000000AD68: D3B50026 1C9A1150
	ds_read_b64_tr_b16 a[160:161], v8 offset:2048              // 00000000AD70: DBC60800 A0000008
	ds_read_b64_tr_b16 a[162:163], v8 offset:2304              // 00000000AD78: DBC60900 A2000008
	ds_read_b64_tr_b16 a[164:165], v9 offset:2048              // 00000000AD80: DBC60800 A4000009
	ds_read_b64_tr_b16 a[166:167], v9 offset:2304              // 00000000AD88: DBC60900 A6000009
	v_mfma_f32_16x16x32_bf16 v[38:41], a[84:87], a[12:15], v[38:41]// 00000000AD90: D3B50026 1C9A1954
	ds_read_b64_tr_b16 a[168:169], v8 offset:3072              // 00000000AD98: DBC60C00 A8000008
	ds_read_b64_tr_b16 a[170:171], v8 offset:3328              // 00000000ADA0: DBC60D00 AA000008
	ds_read_b64_tr_b16 a[172:173], v9 offset:3072              // 00000000ADA8: DBC60C00 AC000009
	ds_read_b64_tr_b16 a[174:175], v9 offset:3328              // 00000000ADB0: DBC60D00 AE000009
	v_mfma_f32_16x16x32_bf16 v[38:41], a[88:91], a[16:19], v[38:41]// 00000000ADB8: D3B50026 1C9A2158
	ds_read_b64_tr_b16 a[176:177], v8 offset:4096              // 00000000ADC0: DBC61000 B0000008
	ds_read_b64_tr_b16 a[178:179], v8 offset:4352              // 00000000ADC8: DBC61100 B2000008
	ds_read_b64_tr_b16 a[180:181], v9 offset:4096              // 00000000ADD0: DBC61000 B4000009
	ds_read_b64_tr_b16 a[182:183], v9 offset:4352              // 00000000ADD8: DBC61100 B6000009
	v_mfma_f32_16x16x32_bf16 v[38:41], a[92:95], a[20:23], v[38:41]// 00000000ADE0: D3B50026 1C9A295C
	ds_read_b64_tr_b16 a[184:185], v8 offset:5120              // 00000000ADE8: DBC61400 B8000008
	ds_read_b64_tr_b16 a[186:187], v8 offset:5376              // 00000000ADF0: DBC61500 BA000008
	ds_read_b64_tr_b16 a[188:189], v9 offset:5120              // 00000000ADF8: DBC61400 BC000009
	ds_read_b64_tr_b16 a[190:191], v9 offset:5376              // 00000000AE00: DBC61500 BE000009
	v_mfma_f32_16x16x32_bf16 v[38:41], a[96:99], a[24:27], v[38:41]// 00000000AE08: D3B50026 1C9A3160
	ds_read_b64_tr_b16 a[192:193], v8 offset:6144              // 00000000AE10: DBC61800 C0000008
	ds_read_b64_tr_b16 a[194:195], v8 offset:6400              // 00000000AE18: DBC61900 C2000008
	ds_read_b64_tr_b16 a[196:197], v9 offset:6144              // 00000000AE20: DBC61800 C4000009
	ds_read_b64_tr_b16 a[198:199], v9 offset:6400              // 00000000AE28: DBC61900 C6000009
	v_mfma_f32_16x16x32_bf16 v[38:41], a[100:103], a[28:31], v[38:41]// 00000000AE30: D3B50026 1C9A3964
	ds_read_b64_tr_b16 a[200:201], v8 offset:7168              // 00000000AE38: DBC61C00 C8000008
	ds_read_b64_tr_b16 a[202:203], v8 offset:7424              // 00000000AE40: DBC61D00 CA000008
	ds_read_b64_tr_b16 a[204:205], v9 offset:7168              // 00000000AE48: DBC61C00 CC000009
	ds_read_b64_tr_b16 a[206:207], v9 offset:7424              // 00000000AE50: DBC61D00 CE000009
	v_mfma_f32_16x16x32_bf16 v[38:41], a[104:107], a[32:35], v[38:41]// 00000000AE58: D3B50026 1C9A4168
	v_mfma_f32_16x16x32_bf16 v[38:41], a[108:111], a[36:39], v[38:41]// 00000000AE60: D3B50026 1C9A496C
	v_mfma_f32_16x16x32_bf16 v[38:41], a[112:115], a[40:43], v[38:41]// 00000000AE68: D3B50026 1C9A5170
	v_mfma_f32_16x16x32_bf16 v[38:41], a[116:119], a[44:47], v[38:41]// 00000000AE70: D3B50026 1C9A5974
	v_mfma_f32_16x16x32_bf16 v[38:41], a[120:123], a[48:51], v[38:41]// 00000000AE78: D3B50026 1C9A6178
	v_mfma_f32_16x16x32_bf16 v[38:41], a[124:127], a[52:55], v[38:41]// 00000000AE80: D3B50026 1C9A697C
	v_mfma_f32_16x16x32_bf16 v[38:41], a[128:131], a[56:59], v[38:41]// 00000000AE88: D3B50026 1C9A7180
	v_mfma_f32_16x16x32_bf16 v[38:41], a[132:135], a[60:63], v[38:41]// 00000000AE90: D3B50026 1C9A7984
	v_mfma_f32_16x16x32_bf16 v[38:41], a[136:139], a[64:67], v[38:41]// 00000000AE98: D3B50026 1C9A8188
	v_mfma_f32_16x16x32_bf16 v[38:41], a[140:143], a[68:71], v[38:41]// 00000000AEA0: D3B50026 1C9A898C
	s_nop 8                                                    // 00000000AEA8: BF800008
	s_and_b32 s56, s48, 0xff                                   // 00000000AEAC: 8638FF30 000000FF
	v_mov_b32_e32 v29, s56                                     // 00000000AEB4: 7E3A0238
	v_lshrrev_b32_e32 v18, 4, v0                               // 00000000AEB8: 20240084
	v_mul_i32_i24_e32 v18, 4, v18                              // 00000000AEBC: 0C242484
	v_add_u32_e32 v19, 1, v18                                  // 00000000AEC0: 68262481
	v_add_u32_e32 v20, 2, v18                                  // 00000000AEC4: 68282482
	v_add_u32_e32 v21, 3, v18                                  // 00000000AEC8: 682A2483
	v_mov_b32_e32 v28, 0xff800000                              // 00000000AECC: 7E3802FF FF800000
	v_cmp_lt_u32_e64 s[36:37], v18, v29                        // 00000000AED4: D0C90024 00023B12
	v_add_u32_e32 v18, 16, v18                                 // 00000000AEDC: 68242490
	s_nop 0                                                    // 00000000AEE0: BF800000
	v_cndmask_b32_e64 v34, v28, v34, s[36:37]                  // 00000000AEE4: D1000022 0092451C
	v_cmp_lt_u32_e64 s[36:37], v19, v29                        // 00000000AEEC: D0C90024 00023B13
	v_add_u32_e32 v19, 16, v19                                 // 00000000AEF4: 68262690
	s_nop 0                                                    // 00000000AEF8: BF800000
	v_cndmask_b32_e64 v35, v28, v35, s[36:37]                  // 00000000AEFC: D1000023 0092471C
	v_cmp_lt_u32_e64 s[36:37], v20, v29                        // 00000000AF04: D0C90024 00023B14
	v_add_u32_e32 v20, 16, v20                                 // 00000000AF0C: 68282890
	s_nop 0                                                    // 00000000AF10: BF800000
	v_cndmask_b32_e64 v36, v28, v36, s[36:37]                  // 00000000AF14: D1000024 0092491C
	v_cmp_lt_u32_e64 s[36:37], v21, v29                        // 00000000AF1C: D0C90024 00023B15
	v_add_u32_e32 v21, 16, v21                                 // 00000000AF24: 682A2A90
	s_nop 0                                                    // 00000000AF28: BF800000
	v_cndmask_b32_e64 v37, v28, v37, s[36:37]                  // 00000000AF2C: D1000025 00924B1C
	v_cmp_lt_u32_e64 s[36:37], v18, v29                        // 00000000AF34: D0C90024 00023B12
	v_add_u32_e32 v18, 16, v18                                 // 00000000AF3C: 68242490
	s_nop 0                                                    // 00000000AF40: BF800000
	v_cndmask_b32_e64 v38, v28, v38, s[36:37]                  // 00000000AF44: D1000026 00924D1C
	v_cmp_lt_u32_e64 s[36:37], v19, v29                        // 00000000AF4C: D0C90024 00023B13
	v_add_u32_e32 v19, 16, v19                                 // 00000000AF54: 68262690
	s_nop 0                                                    // 00000000AF58: BF800000
	v_cndmask_b32_e64 v39, v28, v39, s[36:37]                  // 00000000AF5C: D1000027 00924F1C
	v_cmp_lt_u32_e64 s[36:37], v20, v29                        // 00000000AF64: D0C90024 00023B14
	v_add_u32_e32 v20, 16, v20                                 // 00000000AF6C: 68282890
	s_nop 0                                                    // 00000000AF70: BF800000
	v_cndmask_b32_e64 v40, v28, v40, s[36:37]                  // 00000000AF74: D1000028 0092511C
	v_cmp_lt_u32_e64 s[36:37], v21, v29                        // 00000000AF7C: D0C90024 00023B15
	v_add_u32_e32 v21, 16, v21                                 // 00000000AF84: 682A2A90
	s_nop 0                                                    // 00000000AF88: BF800000
	v_cndmask_b32_e64 v41, v28, v41, s[36:37]                  // 00000000AF8C: D1000029 0092531C
	s_nop 2                                                    // 00000000AF94: BF800002
	v_mov_b32_e32 v29, v34                                     // 00000000AF98: 7E3A0322
	v_max3_f32 v29, v34, v35, v29                              // 00000000AF9C: D1D3001D 04764722
	v_max3_f32 v29, v36, v37, v29                              // 00000000AFA4: D1D3001D 04764B24
	v_max3_f32 v29, v38, v39, v29                              // 00000000AFAC: D1D3001D 04764F26
	v_max3_f32 v29, v40, v41, v29                              // 00000000AFB4: D1D3001D 04765328
	v_mov_b32_e32 v28, v29                                     // 00000000AFBC: 7E38031D
	v_mov_b32_e32 v29, v29                                     // 00000000AFC0: 7E3A031D
	s_nop 1                                                    // 00000000AFC4: BF800001
	v_permlane16_swap_b32_e32 v28, v29                         // 00000000AFC8: 7E38B31D
	v_mov_b32_e32 v31, v28                                     // 00000000AFCC: 7E3E031C
	v_mov_b32_e32 v30, v29                                     // 00000000AFD0: 7E3C031D
	s_nop 1                                                    // 00000000AFD4: BF800001
	v_permlane32_swap_b32_e32 v28, v29                         // 00000000AFD8: 7E38B51D
	v_permlane32_swap_b32_e32 v30, v31                         // 00000000AFDC: 7E3CB51F
	v_max3_f32 v29, v28, v29, v29                              // 00000000AFE0: D1D3001D 04763B1C
	v_max3_f32 v29, v30, v31, v29                              // 00000000AFE8: D1D3001D 04763F1E
	v_mov_b32_e32 v28, 0xff800000                              // 00000000AFF0: 7E3802FF FF800000
	v_cmp_eq_u32_e64 s[36:37], v28, v2                         // 00000000AFF8: D0CA0024 0002051C
	v_max_f32_e32 v29, v29, v2                                 // 00000000B000: 163A051D
	v_sub_f32_e32 v16, v2, v29                                 // 00000000B004: 04203B02
	v_cndmask_b32_e64 v16, v16, 0, s[36:37]                    // 00000000B008: D1000010 00910110
	v_mov_b32_e32 v2, v29                                      // 00000000B010: 7E04031D
	v_mul_f32_e32 v29, s5, v29                                 // 00000000B014: 0A3A3A05
	v_mul_f32_e32 v16, s5, v16                                 // 00000000B018: 0A202005
	v_exp_f32_e32 v16, v16                                     // 00000000B01C: 7E204110
	v_fma_f32 v34, v34, s5, -v29                               // 00000000B020: D1CB0022 84740B22
	v_fma_f32 v35, v35, s5, -v29                               // 00000000B028: D1CB0023 84740B23
	v_fma_f32 v36, v36, s5, -v29                               // 00000000B030: D1CB0024 84740B24
	v_fma_f32 v37, v37, s5, -v29                               // 00000000B038: D1CB0025 84740B25
	v_fma_f32 v38, v38, s5, -v29                               // 00000000B040: D1CB0026 84740B26
	v_fma_f32 v39, v39, s5, -v29                               // 00000000B048: D1CB0027 84740B27
	v_fma_f32 v40, v40, s5, -v29                               // 00000000B050: D1CB0028 84740B28
	v_fma_f32 v41, v41, s5, -v29                               // 00000000B058: D1CB0029 84740B29
	v_exp_f32_e32 v34, v34                                     // 00000000B060: 7E444122
	v_exp_f32_e32 v35, v35                                     // 00000000B064: 7E464123
	v_exp_f32_e32 v36, v36                                     // 00000000B068: 7E484124
	v_exp_f32_e32 v37, v37                                     // 00000000B06C: 7E4A4125
	v_exp_f32_e32 v38, v38                                     // 00000000B070: 7E4C4126
	v_exp_f32_e32 v39, v39                                     // 00000000B074: 7E4E4127
	v_exp_f32_e32 v40, v40                                     // 00000000B078: 7E504128
	v_exp_f32_e32 v41, v41                                     // 00000000B07C: 7E524129
	v_mul_f32_e32 v4, v16, v4                                  // 00000000B080: 0A080910
	v_mov_b32_e32 v28, v34                                     // 00000000B084: 7E380322
	v_add_f32_e32 v28, v35, v28                                // 00000000B088: 02383923
	v_add_f32_e32 v28, v36, v28                                // 00000000B08C: 02383924
	v_add_f32_e32 v28, v37, v28                                // 00000000B090: 02383925
	v_add_f32_e32 v28, v38, v28                                // 00000000B094: 02383926
	v_add_f32_e32 v28, v39, v28                                // 00000000B098: 02383927
	v_add_f32_e32 v28, v40, v28                                // 00000000B09C: 02383928
	v_add_f32_e32 v28, v41, v28                                // 00000000B0A0: 02383929
	v_add_f32_e32 v4, v28, v4                                  // 00000000B0A4: 0208091C
	v_cvt_pk_bf16_f32 v34, v34, v35                            // 00000000B0A8: D2680022 00024722
	v_cvt_pk_bf16_f32 v35, v36, v37                            // 00000000B0B0: D2680023 00024B24
	v_cvt_pk_bf16_f32 v36, v38, v39                            // 00000000B0B8: D2680024 00024F26
	v_cvt_pk_bf16_f32 v37, v40, v41                            // 00000000B0C0: D2680025 00025328
	s_nop 0                                                    // 00000000B0C8: BF800000
	v_permlane32_swap_b32_e32 v34, v36                         // 00000000B0CC: 7E44B524
	v_permlane32_swap_b32_e32 v35, v37                         // 00000000B0D0: 7E46B525
	s_nop 0                                                    // 00000000B0D4: BF800000
	v_permlane16_swap_b32_e32 v34, v36                         // 00000000B0D8: 7E44B324
	v_permlane16_swap_b32_e32 v35, v37                         // 00000000B0DC: 7E46B325
	v_mov_b32_e32 v30, v16                                     // 00000000B0E0: 7E3C0310
	v_mov_b32_e32 v31, v16                                     // 00000000B0E4: 7E3E0310
	v_pk_mul_f32 v[50:51], v[30:31], v[50:51]                  // 00000000B0E8: D3B14032 1802651E
	v_pk_mul_f32 v[52:53], v[30:31], v[52:53]                  // 00000000B0F0: D3B14034 1802691E
	v_pk_mul_f32 v[54:55], v[30:31], v[54:55]                  // 00000000B0F8: D3B14036 18026D1E
	v_pk_mul_f32 v[56:57], v[30:31], v[56:57]                  // 00000000B100: D3B14038 1802711E
	v_pk_mul_f32 v[58:59], v[30:31], v[58:59]                  // 00000000B108: D3B1403A 1802751E
	v_pk_mul_f32 v[60:61], v[30:31], v[60:61]                  // 00000000B110: D3B1403C 1802791E
	v_pk_mul_f32 v[62:63], v[30:31], v[62:63]                  // 00000000B118: D3B1403E 18027D1E
	v_pk_mul_f32 v[64:65], v[30:31], v[64:65]                  // 00000000B120: D3B14040 1802811E
	v_pk_mul_f32 v[66:67], v[30:31], v[66:67]                  // 00000000B128: D3B14042 1802851E
	v_pk_mul_f32 v[68:69], v[30:31], v[68:69]                  // 00000000B130: D3B14044 1802891E
	v_pk_mul_f32 v[70:71], v[30:31], v[70:71]                  // 00000000B138: D3B14046 18028D1E
	v_pk_mul_f32 v[72:73], v[30:31], v[72:73]                  // 00000000B140: D3B14048 1802911E
	v_pk_mul_f32 v[74:75], v[30:31], v[74:75]                  // 00000000B148: D3B1404A 1802951E
	v_pk_mul_f32 v[76:77], v[30:31], v[76:77]                  // 00000000B150: D3B1404C 1802991E
	v_pk_mul_f32 v[78:79], v[30:31], v[78:79]                  // 00000000B158: D3B1404E 18029D1E
	v_pk_mul_f32 v[80:81], v[30:31], v[80:81]                  // 00000000B160: D3B14050 1802A11E
	v_pk_mul_f32 v[82:83], v[30:31], v[82:83]                  // 00000000B168: D3B14052 1802A51E
	v_pk_mul_f32 v[84:85], v[30:31], v[84:85]                  // 00000000B170: D3B14054 1802A91E
	v_pk_mul_f32 v[86:87], v[30:31], v[86:87]                  // 00000000B178: D3B14056 1802AD1E
	v_pk_mul_f32 v[88:89], v[30:31], v[88:89]                  // 00000000B180: D3B14058 1802B11E
	v_pk_mul_f32 v[90:91], v[30:31], v[90:91]                  // 00000000B188: D3B1405A 1802B51E
	v_pk_mul_f32 v[92:93], v[30:31], v[92:93]                  // 00000000B190: D3B1405C 1802B91E
	v_pk_mul_f32 v[94:95], v[30:31], v[94:95]                  // 00000000B198: D3B1405E 1802BD1E
	v_pk_mul_f32 v[96:97], v[30:31], v[96:97]                  // 00000000B1A0: D3B14060 1802C11E
	v_pk_mul_f32 v[98:99], v[30:31], v[98:99]                  // 00000000B1A8: D3B14062 1802C51E
	v_pk_mul_f32 v[100:101], v[30:31], v[100:101]              // 00000000B1B0: D3B14064 1802C91E
	v_pk_mul_f32 v[102:103], v[30:31], v[102:103]              // 00000000B1B8: D3B14066 1802CD1E
	v_pk_mul_f32 v[104:105], v[30:31], v[104:105]              // 00000000B1C0: D3B14068 1802D11E
	v_pk_mul_f32 v[106:107], v[30:31], v[106:107]              // 00000000B1C8: D3B1406A 1802D51E
	v_pk_mul_f32 v[108:109], v[30:31], v[108:109]              // 00000000B1D0: D3B1406C 1802D91E
	v_pk_mul_f32 v[110:111], v[30:31], v[110:111]              // 00000000B1D8: D3B1406E 1802DD1E
	v_pk_mul_f32 v[112:113], v[30:31], v[112:113]              // 00000000B1E0: D3B14070 1802E11E
	v_pk_mul_f32 v[114:115], v[30:31], v[114:115]              // 00000000B1E8: D3B14072 1802E51E
	v_pk_mul_f32 v[116:117], v[30:31], v[116:117]              // 00000000B1F0: D3B14074 1802E91E
	v_pk_mul_f32 v[118:119], v[30:31], v[118:119]              // 00000000B1F8: D3B14076 1802ED1E
	v_pk_mul_f32 v[120:121], v[30:31], v[120:121]              // 00000000B200: D3B14078 1802F11E
	v_pk_mul_f32 v[122:123], v[30:31], v[122:123]              // 00000000B208: D3B1407A 1802F51E
	v_pk_mul_f32 v[124:125], v[30:31], v[124:125]              // 00000000B210: D3B1407C 1802F91E
	v_pk_mul_f32 v[126:127], v[30:31], v[126:127]              // 00000000B218: D3B1407E 1802FD1E
	v_pk_mul_f32 v[128:129], v[30:31], v[128:129]              // 00000000B220: D3B14080 1803011E
	v_pk_mul_f32 v[130:131], v[30:31], v[130:131]              // 00000000B228: D3B14082 1803051E
	v_pk_mul_f32 v[132:133], v[30:31], v[132:133]              // 00000000B230: D3B14084 1803091E
	v_pk_mul_f32 v[134:135], v[30:31], v[134:135]              // 00000000B238: D3B14086 18030D1E
	v_pk_mul_f32 v[136:137], v[30:31], v[136:137]              // 00000000B240: D3B14088 1803111E
	v_pk_mul_f32 v[138:139], v[30:31], v[138:139]              // 00000000B248: D3B1408A 1803151E
	v_pk_mul_f32 v[140:141], v[30:31], v[140:141]              // 00000000B250: D3B1408C 1803191E
	v_pk_mul_f32 v[142:143], v[30:31], v[142:143]              // 00000000B258: D3B1408E 18031D1E
	v_pk_mul_f32 v[144:145], v[30:31], v[144:145]              // 00000000B260: D3B14090 1803211E
	v_pk_mul_f32 v[146:147], v[30:31], v[146:147]              // 00000000B268: D3B14092 1803251E
	v_pk_mul_f32 v[148:149], v[30:31], v[148:149]              // 00000000B270: D3B14094 1803291E
	v_pk_mul_f32 v[150:151], v[30:31], v[150:151]              // 00000000B278: D3B14096 18032D1E
	v_pk_mul_f32 v[152:153], v[30:31], v[152:153]              // 00000000B280: D3B14098 1803311E
	v_pk_mul_f32 v[154:155], v[30:31], v[154:155]              // 00000000B288: D3B1409A 1803351E
	v_pk_mul_f32 v[156:157], v[30:31], v[156:157]              // 00000000B290: D3B1409C 1803391E
	v_pk_mul_f32 v[158:159], v[30:31], v[158:159]              // 00000000B298: D3B1409E 18033D1E
	v_pk_mul_f32 v[160:161], v[30:31], v[160:161]              // 00000000B2A0: D3B140A0 1803411E
	v_pk_mul_f32 v[162:163], v[30:31], v[162:163]              // 00000000B2A8: D3B140A2 1803451E
	v_pk_mul_f32 v[164:165], v[30:31], v[164:165]              // 00000000B2B0: D3B140A4 1803491E
	v_pk_mul_f32 v[166:167], v[30:31], v[166:167]              // 00000000B2B8: D3B140A6 18034D1E
	v_pk_mul_f32 v[168:169], v[30:31], v[168:169]              // 00000000B2C0: D3B140A8 1803511E
	v_pk_mul_f32 v[170:171], v[30:31], v[170:171]              // 00000000B2C8: D3B140AA 1803551E
	v_pk_mul_f32 v[172:173], v[30:31], v[172:173]              // 00000000B2D0: D3B140AC 1803591E
	v_pk_mul_f32 v[174:175], v[30:31], v[174:175]              // 00000000B2D8: D3B140AE 18035D1E
	v_pk_mul_f32 v[176:177], v[30:31], v[176:177]              // 00000000B2E0: D3B140B0 1803611E
	s_waitcnt lgkmcnt(0)                                       // 00000000B2E8: BF8CC07F
	v_mfma_f32_16x16x32_bf16 v[50:53], a[144:147], v[34:37], v[50:53]// 00000000B2EC: D3B50032 0CCA4590
	v_mfma_f32_16x16x32_bf16 v[54:57], a[148:151], v[34:37], v[54:57]// 00000000B2F4: D3B50036 0CDA4594
	v_mfma_f32_16x16x32_bf16 v[58:61], a[152:155], v[34:37], v[58:61]// 00000000B2FC: D3B5003A 0CEA4598
	v_mfma_f32_16x16x32_bf16 v[62:65], a[156:159], v[34:37], v[62:65]// 00000000B304: D3B5003E 0CFA459C
	v_mfma_f32_16x16x32_bf16 v[66:69], a[160:163], v[34:37], v[66:69]// 00000000B30C: D3B50042 0D0A45A0
	v_mfma_f32_16x16x32_bf16 v[70:73], a[164:167], v[34:37], v[70:73]// 00000000B314: D3B50046 0D1A45A4
	v_mfma_f32_16x16x32_bf16 v[74:77], a[168:171], v[34:37], v[74:77]// 00000000B31C: D3B5004A 0D2A45A8
	v_mfma_f32_16x16x32_bf16 v[78:81], a[172:175], v[34:37], v[78:81]// 00000000B324: D3B5004E 0D3A45AC
	v_mfma_f32_16x16x32_bf16 v[82:85], a[176:179], v[34:37], v[82:85]// 00000000B32C: D3B50052 0D4A45B0
	v_mfma_f32_16x16x32_bf16 v[86:89], a[180:183], v[34:37], v[86:89]// 00000000B334: D3B50056 0D5A45B4
	v_mfma_f32_16x16x32_bf16 v[90:93], a[184:187], v[34:37], v[90:93]// 00000000B33C: D3B5005A 0D6A45B8
	ds_read_b64_tr_b16 a[144:145], v8 offset:8192              // 00000000B344: DBC62000 90000008
	ds_read_b64_tr_b16 a[146:147], v8 offset:8448              // 00000000B34C: DBC62100 92000008
	ds_read_b64_tr_b16 a[148:149], v9 offset:8192              // 00000000B354: DBC62000 94000009
	ds_read_b64_tr_b16 a[150:151], v9 offset:8448              // 00000000B35C: DBC62100 96000009
	v_mfma_f32_16x16x32_bf16 v[94:97], a[188:191], v[34:37], v[94:97]// 00000000B364: D3B5005E 0D7A45BC
	ds_read_b64_tr_b16 a[152:153], v8 offset:9216              // 00000000B36C: DBC62400 98000008
	ds_read_b64_tr_b16 a[154:155], v8 offset:9472              // 00000000B374: DBC62500 9A000008
	ds_read_b64_tr_b16 a[156:157], v9 offset:9216              // 00000000B37C: DBC62400 9C000009
	ds_read_b64_tr_b16 a[158:159], v9 offset:9472              // 00000000B384: DBC62500 9E000009
	v_mfma_f32_16x16x32_bf16 v[98:101], a[192:195], v[34:37], v[98:101]// 00000000B38C: D3B50062 0D8A45C0
	ds_read_b64_tr_b16 a[160:161], v8 offset:10240             // 00000000B394: DBC62800 A0000008
	ds_read_b64_tr_b16 a[162:163], v8 offset:10496             // 00000000B39C: DBC62900 A2000008
	ds_read_b64_tr_b16 a[164:165], v9 offset:10240             // 00000000B3A4: DBC62800 A4000009
	ds_read_b64_tr_b16 a[166:167], v9 offset:10496             // 00000000B3AC: DBC62900 A6000009
	v_mfma_f32_16x16x32_bf16 v[102:105], a[196:199], v[34:37], v[102:105]// 00000000B3B4: D3B50066 0D9A45C4
	ds_read_b64_tr_b16 a[168:169], v8 offset:11264             // 00000000B3BC: DBC62C00 A8000008
	ds_read_b64_tr_b16 a[170:171], v8 offset:11520             // 00000000B3C4: DBC62D00 AA000008
	ds_read_b64_tr_b16 a[172:173], v9 offset:11264             // 00000000B3CC: DBC62C00 AC000009
	ds_read_b64_tr_b16 a[174:175], v9 offset:11520             // 00000000B3D4: DBC62D00 AE000009
	v_mfma_f32_16x16x32_bf16 v[106:109], a[200:203], v[34:37], v[106:109]// 00000000B3DC: D3B5006A 0DAA45C8
	ds_read_b64_tr_b16 a[176:177], v8 offset:12288             // 00000000B3E4: DBC63000 B0000008
	ds_read_b64_tr_b16 a[178:179], v8 offset:12544             // 00000000B3EC: DBC63100 B2000008
	ds_read_b64_tr_b16 a[180:181], v9 offset:12288             // 00000000B3F4: DBC63000 B4000009
	ds_read_b64_tr_b16 a[182:183], v9 offset:12544             // 00000000B3FC: DBC63100 B6000009
	v_mfma_f32_16x16x32_bf16 v[110:113], a[204:207], v[34:37], v[110:113]// 00000000B404: D3B5006E 0DBA45CC
	ds_read_b64_tr_b16 a[184:185], v8 offset:13312             // 00000000B40C: DBC63400 B8000008
	ds_read_b64_tr_b16 a[186:187], v8 offset:13568             // 00000000B414: DBC63500 BA000008
	ds_read_b64_tr_b16 a[188:189], v9 offset:13312             // 00000000B41C: DBC63400 BC000009
	ds_read_b64_tr_b16 a[190:191], v9 offset:13568             // 00000000B424: DBC63500 BE000009
	ds_read_b64_tr_b16 a[192:193], v8 offset:14336             // 00000000B42C: DBC63800 C0000008
	ds_read_b64_tr_b16 a[194:195], v8 offset:14592             // 00000000B434: DBC63900 C2000008
	ds_read_b64_tr_b16 a[196:197], v9 offset:14336             // 00000000B43C: DBC63800 C4000009
	ds_read_b64_tr_b16 a[198:199], v9 offset:14592             // 00000000B444: DBC63900 C6000009
	ds_read_b64_tr_b16 a[200:201], v8 offset:15360             // 00000000B44C: DBC63C00 C8000008
	ds_read_b64_tr_b16 a[202:203], v8 offset:15616             // 00000000B454: DBC63D00 CA000008
	ds_read_b64_tr_b16 a[204:205], v9 offset:15360             // 00000000B45C: DBC63C00 CC000009
	ds_read_b64_tr_b16 a[206:207], v9 offset:15616             // 00000000B464: DBC63D00 CE000009
	s_waitcnt lgkmcnt(0)                                       // 00000000B46C: BF8CC07F
	v_mfma_f32_16x16x32_bf16 v[114:117], a[144:147], v[34:37], v[114:117]// 00000000B470: D3B50072 0DCA4590
	v_mfma_f32_16x16x32_bf16 v[118:121], a[148:151], v[34:37], v[118:121]// 00000000B478: D3B50076 0DDA4594
	v_mfma_f32_16x16x32_bf16 v[122:125], a[152:155], v[34:37], v[122:125]// 00000000B480: D3B5007A 0DEA4598
	v_mfma_f32_16x16x32_bf16 v[126:129], a[156:159], v[34:37], v[126:129]// 00000000B488: D3B5007E 0DFA459C
	v_mfma_f32_16x16x32_bf16 v[130:133], a[160:163], v[34:37], v[130:133]// 00000000B490: D3B50082 0E0A45A0
	v_mfma_f32_16x16x32_bf16 v[134:137], a[164:167], v[34:37], v[134:137]// 00000000B498: D3B50086 0E1A45A4
	v_mfma_f32_16x16x32_bf16 v[138:141], a[168:171], v[34:37], v[138:141]// 00000000B4A0: D3B5008A 0E2A45A8
	v_mfma_f32_16x16x32_bf16 v[142:145], a[172:175], v[34:37], v[142:145]// 00000000B4A8: D3B5008E 0E3A45AC
	v_mfma_f32_16x16x32_bf16 v[146:149], a[176:179], v[34:37], v[146:149]// 00000000B4B0: D3B50092 0E4A45B0
	v_mfma_f32_16x16x32_bf16 v[150:153], a[180:183], v[34:37], v[150:153]// 00000000B4B8: D3B50096 0E5A45B4
	v_mfma_f32_16x16x32_bf16 v[154:157], a[184:187], v[34:37], v[154:157]// 00000000B4C0: D3B5009A 0E6A45B8
	v_mfma_f32_16x16x32_bf16 v[158:161], a[188:191], v[34:37], v[158:161]// 00000000B4C8: D3B5009E 0E7A45BC
	v_mfma_f32_16x16x32_bf16 v[162:165], a[192:195], v[34:37], v[162:165]// 00000000B4D0: D3B500A2 0E8A45C0
	v_mfma_f32_16x16x32_bf16 v[166:169], a[196:199], v[34:37], v[166:169]// 00000000B4D8: D3B500A6 0E9A45C4
	v_mfma_f32_16x16x32_bf16 v[170:173], a[200:203], v[34:37], v[170:173]// 00000000B4E0: D3B500AA 0EAA45C8
	v_mfma_f32_16x16x32_bf16 v[174:177], a[204:207], v[34:37], v[174:177]// 00000000B4E8: D3B500AE 0EBA45CC
	s_nop 8                                                    // 00000000B4F0: BF800008
	s_branch label_AD18                                        // 00000000B4F4: BF8206C6

000000000000b4f8 <label_8FF8>:
	s_waitcnt lgkmcnt(0)                                       // 00000000B4F8: BF8CC07F
	v_mfma_f32_16x16x32_bf16 v[42:45], a[72:75], a[0:3], 0     // 00000000B4FC: D3B5002A 1A020148
	v_mfma_f32_16x16x32_bf16 v[42:45], a[76:79], a[4:7], v[42:45]// 00000000B504: D3B5002A 1CAA094C
	v_mfma_f32_16x16x32_bf16 v[42:45], a[80:83], a[8:11], v[42:45]// 00000000B50C: D3B5002A 1CAA1150
	v_mfma_f32_16x16x32_bf16 v[42:45], a[84:87], a[12:15], v[42:45]// 00000000B514: D3B5002A 1CAA1954
	v_mfma_f32_16x16x32_bf16 v[42:45], a[88:91], a[16:19], v[42:45]// 00000000B51C: D3B5002A 1CAA2158
	v_mfma_f32_16x16x32_bf16 v[42:45], a[92:95], a[20:23], v[42:45]// 00000000B524: D3B5002A 1CAA295C
	v_mfma_f32_16x16x32_bf16 v[42:45], a[96:99], a[24:27], v[42:45]// 00000000B52C: D3B5002A 1CAA3160
	v_mfma_f32_16x16x32_bf16 v[42:45], a[100:103], a[28:31], v[42:45]// 00000000B534: D3B5002A 1CAA3964
	ds_read_b128 a[72:75], v19 offset:18432                    // 00000000B53C: DBFE4800 48000013
	ds_read_b128 a[76:79], v19 offset:19456                    // 00000000B544: DBFE4C00 4C000013
	v_mfma_f32_16x16x32_bf16 v[42:45], a[104:107], a[32:35], v[42:45]// 00000000B54C: D3B5002A 1CAA4168
	v_mfma_f32_16x16x32_bf16 v[42:45], a[108:111], a[36:39], v[42:45]// 00000000B554: D3B5002A 1CAA496C
	ds_read_b128 a[80:83], v19 offset:20480                    // 00000000B55C: DBFE5000 50000013
	ds_read_b128 a[84:87], v19 offset:21504                    // 00000000B564: DBFE5400 54000013
	v_mfma_f32_16x16x32_bf16 v[42:45], a[112:115], a[40:43], v[42:45]// 00000000B56C: D3B5002A 1CAA5170
	v_mfma_f32_16x16x32_bf16 v[42:45], a[116:119], a[44:47], v[42:45]// 00000000B574: D3B5002A 1CAA5974
	ds_read_b128 a[88:91], v19 offset:22528                    // 00000000B57C: DBFE5800 58000013
	ds_read_b128 a[92:95], v19 offset:23552                    // 00000000B584: DBFE5C00 5C000013
	v_mfma_f32_16x16x32_bf16 v[42:45], a[120:123], a[48:51], v[42:45]// 00000000B58C: D3B5002A 1CAA6178
	v_mfma_f32_16x16x32_bf16 v[42:45], a[124:127], a[52:55], v[42:45]// 00000000B594: D3B5002A 1CAA697C
	ds_read_b128 a[96:99], v19 offset:24576                    // 00000000B59C: DBFE6000 60000013
	ds_read_b128 a[100:103], v19 offset:25600                  // 00000000B5A4: DBFE6400 64000013
	v_mfma_f32_16x16x32_bf16 v[42:45], a[128:131], a[56:59], v[42:45]// 00000000B5AC: D3B5002A 1CAA7180
	v_mfma_f32_16x16x32_bf16 v[42:45], a[132:135], a[60:63], v[42:45]// 00000000B5B4: D3B5002A 1CAA7984
	ds_read_b128 a[104:107], v19 offset:26624                  // 00000000B5BC: DBFE6800 68000013
	ds_read_b128 a[108:111], v19 offset:27648                  // 00000000B5C4: DBFE6C00 6C000013
	v_mfma_f32_16x16x32_bf16 v[42:45], a[136:139], a[64:67], v[42:45]// 00000000B5CC: D3B5002A 1CAA8188
	v_mfma_f32_16x16x32_bf16 v[42:45], a[140:143], a[68:71], v[42:45]// 00000000B5D4: D3B5002A 1CAA898C
	ds_read_b128 a[112:115], v19 offset:28672                  // 00000000B5DC: DBFE7000 70000013
	ds_read_b128 a[116:119], v19 offset:29696                  // 00000000B5E4: DBFE7400 74000013
	ds_read_b128 a[120:123], v19 offset:30720                  // 00000000B5EC: DBFE7800 78000013
	ds_read_b128 a[124:127], v19 offset:31744                  // 00000000B5F4: DBFE7C00 7C000013
	ds_read_b128 a[128:131], v19 offset:32768                  // 00000000B5FC: DBFE8000 80000013
	ds_read_b128 a[132:135], v19 offset:33792                  // 00000000B604: DBFE8400 84000013
	ds_read_b128 a[136:139], v19 offset:34816                  // 00000000B60C: DBFE8800 88000013
	ds_read_b128 a[140:143], v19 offset:35840                  // 00000000B614: DBFE8C00 8C000013
	s_waitcnt lgkmcnt(0)                                       // 00000000B61C: BF8CC07F
	v_mfma_f32_16x16x32_bf16 v[46:49], a[72:75], a[0:3], 0     // 00000000B620: D3B5002E 1A020148
	ds_read_b64_tr_b16 a[144:145], v10                         // 00000000B628: DBC60000 9000000A
	ds_read_b64_tr_b16 a[146:147], v10 offset:256              // 00000000B630: DBC60100 9200000A
	ds_read_b64_tr_b16 a[148:149], v11                         // 00000000B638: DBC60000 9400000B
	ds_read_b64_tr_b16 a[150:151], v11 offset:256              // 00000000B640: DBC60100 9600000B
	v_mfma_f32_16x16x32_bf16 v[46:49], a[76:79], a[4:7], v[46:49]// 00000000B648: D3B5002E 1CBA094C
	ds_read_b64_tr_b16 a[152:153], v10 offset:1024             // 00000000B650: DBC60400 9800000A
	ds_read_b64_tr_b16 a[154:155], v10 offset:1280             // 00000000B658: DBC60500 9A00000A
	ds_read_b64_tr_b16 a[156:157], v11 offset:1024             // 00000000B660: DBC60400 9C00000B
	ds_read_b64_tr_b16 a[158:159], v11 offset:1280             // 00000000B668: DBC60500 9E00000B
	v_mfma_f32_16x16x32_bf16 v[46:49], a[80:83], a[8:11], v[46:49]// 00000000B670: D3B5002E 1CBA1150
	ds_read_b64_tr_b16 a[160:161], v10 offset:2048             // 00000000B678: DBC60800 A000000A
	ds_read_b64_tr_b16 a[162:163], v10 offset:2304             // 00000000B680: DBC60900 A200000A
	ds_read_b64_tr_b16 a[164:165], v11 offset:2048             // 00000000B688: DBC60800 A400000B
	ds_read_b64_tr_b16 a[166:167], v11 offset:2304             // 00000000B690: DBC60900 A600000B
	v_mfma_f32_16x16x32_bf16 v[46:49], a[84:87], a[12:15], v[46:49]// 00000000B698: D3B5002E 1CBA1954
	ds_read_b64_tr_b16 a[168:169], v10 offset:3072             // 00000000B6A0: DBC60C00 A800000A
	ds_read_b64_tr_b16 a[170:171], v10 offset:3328             // 00000000B6A8: DBC60D00 AA00000A
	ds_read_b64_tr_b16 a[172:173], v11 offset:3072             // 00000000B6B0: DBC60C00 AC00000B
	ds_read_b64_tr_b16 a[174:175], v11 offset:3328             // 00000000B6B8: DBC60D00 AE00000B
	v_mfma_f32_16x16x32_bf16 v[46:49], a[88:91], a[16:19], v[46:49]// 00000000B6C0: D3B5002E 1CBA2158
	ds_read_b64_tr_b16 a[176:177], v10 offset:4096             // 00000000B6C8: DBC61000 B000000A
	ds_read_b64_tr_b16 a[178:179], v10 offset:4352             // 00000000B6D0: DBC61100 B200000A
	ds_read_b64_tr_b16 a[180:181], v11 offset:4096             // 00000000B6D8: DBC61000 B400000B
	ds_read_b64_tr_b16 a[182:183], v11 offset:4352             // 00000000B6E0: DBC61100 B600000B
	v_mfma_f32_16x16x32_bf16 v[46:49], a[92:95], a[20:23], v[46:49]// 00000000B6E8: D3B5002E 1CBA295C
	ds_read_b64_tr_b16 a[184:185], v10 offset:5120             // 00000000B6F0: DBC61400 B800000A
	ds_read_b64_tr_b16 a[186:187], v10 offset:5376             // 00000000B6F8: DBC61500 BA00000A
	ds_read_b64_tr_b16 a[188:189], v11 offset:5120             // 00000000B700: DBC61400 BC00000B
	ds_read_b64_tr_b16 a[190:191], v11 offset:5376             // 00000000B708: DBC61500 BE00000B
	v_mfma_f32_16x16x32_bf16 v[46:49], a[96:99], a[24:27], v[46:49]// 00000000B710: D3B5002E 1CBA3160
	ds_read_b64_tr_b16 a[192:193], v10 offset:6144             // 00000000B718: DBC61800 C000000A
	ds_read_b64_tr_b16 a[194:195], v10 offset:6400             // 00000000B720: DBC61900 C200000A
	ds_read_b64_tr_b16 a[196:197], v11 offset:6144             // 00000000B728: DBC61800 C400000B
	ds_read_b64_tr_b16 a[198:199], v11 offset:6400             // 00000000B730: DBC61900 C600000B
	v_mfma_f32_16x16x32_bf16 v[46:49], a[100:103], a[28:31], v[46:49]// 00000000B738: D3B5002E 1CBA3964
	ds_read_b64_tr_b16 a[200:201], v10 offset:7168             // 00000000B740: DBC61C00 C800000A
	ds_read_b64_tr_b16 a[202:203], v10 offset:7424             // 00000000B748: DBC61D00 CA00000A
	ds_read_b64_tr_b16 a[204:205], v11 offset:7168             // 00000000B750: DBC61C00 CC00000B
	ds_read_b64_tr_b16 a[206:207], v11 offset:7424             // 00000000B758: DBC61D00 CE00000B
	v_mfma_f32_16x16x32_bf16 v[46:49], a[104:107], a[32:35], v[46:49]// 00000000B760: D3B5002E 1CBA4168
	v_mfma_f32_16x16x32_bf16 v[46:49], a[108:111], a[36:39], v[46:49]// 00000000B768: D3B5002E 1CBA496C
	v_mfma_f32_16x16x32_bf16 v[46:49], a[112:115], a[40:43], v[46:49]// 00000000B770: D3B5002E 1CBA5170
	v_mfma_f32_16x16x32_bf16 v[46:49], a[116:119], a[44:47], v[46:49]// 00000000B778: D3B5002E 1CBA5974
	v_mfma_f32_16x16x32_bf16 v[46:49], a[120:123], a[48:51], v[46:49]// 00000000B780: D3B5002E 1CBA6178
	v_mfma_f32_16x16x32_bf16 v[46:49], a[124:127], a[52:55], v[46:49]// 00000000B788: D3B5002E 1CBA697C
	v_mfma_f32_16x16x32_bf16 v[46:49], a[128:131], a[56:59], v[46:49]// 00000000B790: D3B5002E 1CBA7180
	v_mfma_f32_16x16x32_bf16 v[46:49], a[132:135], a[60:63], v[46:49]// 00000000B798: D3B5002E 1CBA7984
	v_mfma_f32_16x16x32_bf16 v[46:49], a[136:139], a[64:67], v[46:49]// 00000000B7A0: D3B5002E 1CBA8188
	v_mfma_f32_16x16x32_bf16 v[46:49], a[140:143], a[68:71], v[46:49]// 00000000B7A8: D3B5002E 1CBA898C
	s_nop 8                                                    // 00000000B7B0: BF800008
	s_and_b32 s56, s48, 0xff                                   // 00000000B7B4: 8638FF30 000000FF
	v_mov_b32_e32 v29, s56                                     // 00000000B7BC: 7E3A0238
	v_lshrrev_b32_e32 v18, 4, v0                               // 00000000B7C0: 20240084
	v_mul_i32_i24_e32 v18, 4, v18                              // 00000000B7C4: 0C242484
	v_add_u32_e32 v19, 1, v18                                  // 00000000B7C8: 68262481
	v_add_u32_e32 v20, 2, v18                                  // 00000000B7CC: 68282482
	v_add_u32_e32 v21, 3, v18                                  // 00000000B7D0: 682A2483
	v_mov_b32_e32 v28, 0xff800000                              // 00000000B7D4: 7E3802FF FF800000
	v_cmp_lt_u32_e64 s[36:37], v18, v29                        // 00000000B7DC: D0C90024 00023B12
	v_add_u32_e32 v18, 16, v18                                 // 00000000B7E4: 68242490
	s_nop 0                                                    // 00000000B7E8: BF800000
	v_cndmask_b32_e64 v42, v28, v42, s[36:37]                  // 00000000B7EC: D100002A 0092551C
	v_cmp_lt_u32_e64 s[36:37], v19, v29                        // 00000000B7F4: D0C90024 00023B13
	v_add_u32_e32 v19, 16, v19                                 // 00000000B7FC: 68262690
	s_nop 0                                                    // 00000000B800: BF800000
	v_cndmask_b32_e64 v43, v28, v43, s[36:37]                  // 00000000B804: D100002B 0092571C
	v_cmp_lt_u32_e64 s[36:37], v20, v29                        // 00000000B80C: D0C90024 00023B14
	v_add_u32_e32 v20, 16, v20                                 // 00000000B814: 68282890
	s_nop 0                                                    // 00000000B818: BF800000
	v_cndmask_b32_e64 v44, v28, v44, s[36:37]                  // 00000000B81C: D100002C 0092591C
	v_cmp_lt_u32_e64 s[36:37], v21, v29                        // 00000000B824: D0C90024 00023B15
	v_add_u32_e32 v21, 16, v21                                 // 00000000B82C: 682A2A90
	s_nop 0                                                    // 00000000B830: BF800000
	v_cndmask_b32_e64 v45, v28, v45, s[36:37]                  // 00000000B834: D100002D 00925B1C
	v_cmp_lt_u32_e64 s[36:37], v18, v29                        // 00000000B83C: D0C90024 00023B12
	v_add_u32_e32 v18, 16, v18                                 // 00000000B844: 68242490
	s_nop 0                                                    // 00000000B848: BF800000
	v_cndmask_b32_e64 v46, v28, v46, s[36:37]                  // 00000000B84C: D100002E 00925D1C
	v_cmp_lt_u32_e64 s[36:37], v19, v29                        // 00000000B854: D0C90024 00023B13
	v_add_u32_e32 v19, 16, v19                                 // 00000000B85C: 68262690
	s_nop 0                                                    // 00000000B860: BF800000
	v_cndmask_b32_e64 v47, v28, v47, s[36:37]                  // 00000000B864: D100002F 00925F1C
	v_cmp_lt_u32_e64 s[36:37], v20, v29                        // 00000000B86C: D0C90024 00023B14
	v_add_u32_e32 v20, 16, v20                                 // 00000000B874: 68282890
	s_nop 0                                                    // 00000000B878: BF800000
	v_cndmask_b32_e64 v48, v28, v48, s[36:37]                  // 00000000B87C: D1000030 0092611C
	v_cmp_lt_u32_e64 s[36:37], v21, v29                        // 00000000B884: D0C90024 00023B15
	v_add_u32_e32 v21, 16, v21                                 // 00000000B88C: 682A2A90
	s_nop 0                                                    // 00000000B890: BF800000
	v_cndmask_b32_e64 v49, v28, v49, s[36:37]                  // 00000000B894: D1000031 0092631C
	s_nop 2                                                    // 00000000B89C: BF800002
	v_mov_b32_e32 v29, v42                                     // 00000000B8A0: 7E3A032A
	v_max3_f32 v29, v42, v43, v29                              // 00000000B8A4: D1D3001D 0476572A
	v_max3_f32 v29, v44, v45, v29                              // 00000000B8AC: D1D3001D 04765B2C
	v_max3_f32 v29, v46, v47, v29                              // 00000000B8B4: D1D3001D 04765F2E
	v_max3_f32 v29, v48, v49, v29                              // 00000000B8BC: D1D3001D 04766330
	v_mov_b32_e32 v28, v29                                     // 00000000B8C4: 7E38031D
	v_mov_b32_e32 v29, v29                                     // 00000000B8C8: 7E3A031D
	s_nop 1                                                    // 00000000B8CC: BF800001
	v_permlane16_swap_b32_e32 v28, v29                         // 00000000B8D0: 7E38B31D
	v_mov_b32_e32 v31, v28                                     // 00000000B8D4: 7E3E031C
	v_mov_b32_e32 v30, v29                                     // 00000000B8D8: 7E3C031D
	s_nop 1                                                    // 00000000B8DC: BF800001
	v_permlane32_swap_b32_e32 v28, v29                         // 00000000B8E0: 7E38B51D
	v_permlane32_swap_b32_e32 v30, v31                         // 00000000B8E4: 7E3CB51F
	v_max3_f32 v29, v28, v29, v29                              // 00000000B8E8: D1D3001D 04763B1C
	v_max3_f32 v29, v30, v31, v29                              // 00000000B8F0: D1D3001D 04763F1E
	v_mov_b32_e32 v28, 0xff800000                              // 00000000B8F8: 7E3802FF FF800000
	v_cmp_eq_u32_e64 s[36:37], v28, v2                         // 00000000B900: D0CA0024 0002051C
	v_max_f32_e32 v29, v29, v2                                 // 00000000B908: 163A051D
	v_sub_f32_e32 v16, v2, v29                                 // 00000000B90C: 04203B02
	v_cndmask_b32_e64 v16, v16, 0, s[36:37]                    // 00000000B910: D1000010 00910110
	v_mov_b32_e32 v2, v29                                      // 00000000B918: 7E04031D
	v_mul_f32_e32 v29, s5, v29                                 // 00000000B91C: 0A3A3A05
	v_mul_f32_e32 v16, s5, v16                                 // 00000000B920: 0A202005
	v_exp_f32_e32 v16, v16                                     // 00000000B924: 7E204110
	v_fma_f32 v42, v42, s5, -v29                               // 00000000B928: D1CB002A 84740B2A
	v_fma_f32 v43, v43, s5, -v29                               // 00000000B930: D1CB002B 84740B2B
	v_fma_f32 v44, v44, s5, -v29                               // 00000000B938: D1CB002C 84740B2C
	v_fma_f32 v45, v45, s5, -v29                               // 00000000B940: D1CB002D 84740B2D
	v_fma_f32 v46, v46, s5, -v29                               // 00000000B948: D1CB002E 84740B2E
	v_fma_f32 v47, v47, s5, -v29                               // 00000000B950: D1CB002F 84740B2F
	v_fma_f32 v48, v48, s5, -v29                               // 00000000B958: D1CB0030 84740B30
	v_fma_f32 v49, v49, s5, -v29                               // 00000000B960: D1CB0031 84740B31
	v_exp_f32_e32 v42, v42                                     // 00000000B968: 7E54412A
	v_exp_f32_e32 v43, v43                                     // 00000000B96C: 7E56412B
	v_exp_f32_e32 v44, v44                                     // 00000000B970: 7E58412C
	v_exp_f32_e32 v45, v45                                     // 00000000B974: 7E5A412D
	v_exp_f32_e32 v46, v46                                     // 00000000B978: 7E5C412E
	v_exp_f32_e32 v47, v47                                     // 00000000B97C: 7E5E412F
	v_exp_f32_e32 v48, v48                                     // 00000000B980: 7E604130
	v_exp_f32_e32 v49, v49                                     // 00000000B984: 7E624131
	v_mul_f32_e32 v4, v16, v4                                  // 00000000B988: 0A080910
	v_mov_b32_e32 v28, v42                                     // 00000000B98C: 7E38032A
	v_add_f32_e32 v28, v43, v28                                // 00000000B990: 0238392B
	v_add_f32_e32 v28, v44, v28                                // 00000000B994: 0238392C
	v_add_f32_e32 v28, v45, v28                                // 00000000B998: 0238392D
	v_add_f32_e32 v28, v46, v28                                // 00000000B99C: 0238392E
	v_add_f32_e32 v28, v47, v28                                // 00000000B9A0: 0238392F
	v_add_f32_e32 v28, v48, v28                                // 00000000B9A4: 02383930
	v_add_f32_e32 v28, v49, v28                                // 00000000B9A8: 02383931
	v_add_f32_e32 v4, v28, v4                                  // 00000000B9AC: 0208091C
	v_cvt_pk_bf16_f32 v42, v42, v43                            // 00000000B9B0: D268002A 0002572A
	v_cvt_pk_bf16_f32 v43, v44, v45                            // 00000000B9B8: D268002B 00025B2C
	v_cvt_pk_bf16_f32 v44, v46, v47                            // 00000000B9C0: D268002C 00025F2E
	v_cvt_pk_bf16_f32 v45, v48, v49                            // 00000000B9C8: D268002D 00026330
	s_nop 0                                                    // 00000000B9D0: BF800000
	v_permlane32_swap_b32_e32 v42, v44                         // 00000000B9D4: 7E54B52C
	v_permlane32_swap_b32_e32 v43, v45                         // 00000000B9D8: 7E56B52D
	s_nop 0                                                    // 00000000B9DC: BF800000
	v_permlane16_swap_b32_e32 v42, v44                         // 00000000B9E0: 7E54B32C
	v_permlane16_swap_b32_e32 v43, v45                         // 00000000B9E4: 7E56B32D
	v_mov_b32_e32 v30, v16                                     // 00000000B9E8: 7E3C0310
	v_mov_b32_e32 v31, v16                                     // 00000000B9EC: 7E3E0310
	v_pk_mul_f32 v[50:51], v[30:31], v[50:51]                  // 00000000B9F0: D3B14032 1802651E
	v_pk_mul_f32 v[52:53], v[30:31], v[52:53]                  // 00000000B9F8: D3B14034 1802691E
	v_pk_mul_f32 v[54:55], v[30:31], v[54:55]                  // 00000000BA00: D3B14036 18026D1E
	v_pk_mul_f32 v[56:57], v[30:31], v[56:57]                  // 00000000BA08: D3B14038 1802711E
	v_pk_mul_f32 v[58:59], v[30:31], v[58:59]                  // 00000000BA10: D3B1403A 1802751E
	v_pk_mul_f32 v[60:61], v[30:31], v[60:61]                  // 00000000BA18: D3B1403C 1802791E
	v_pk_mul_f32 v[62:63], v[30:31], v[62:63]                  // 00000000BA20: D3B1403E 18027D1E
	v_pk_mul_f32 v[64:65], v[30:31], v[64:65]                  // 00000000BA28: D3B14040 1802811E
	v_pk_mul_f32 v[66:67], v[30:31], v[66:67]                  // 00000000BA30: D3B14042 1802851E
	v_pk_mul_f32 v[68:69], v[30:31], v[68:69]                  // 00000000BA38: D3B14044 1802891E
	v_pk_mul_f32 v[70:71], v[30:31], v[70:71]                  // 00000000BA40: D3B14046 18028D1E
	v_pk_mul_f32 v[72:73], v[30:31], v[72:73]                  // 00000000BA48: D3B14048 1802911E
	v_pk_mul_f32 v[74:75], v[30:31], v[74:75]                  // 00000000BA50: D3B1404A 1802951E
	v_pk_mul_f32 v[76:77], v[30:31], v[76:77]                  // 00000000BA58: D3B1404C 1802991E
	v_pk_mul_f32 v[78:79], v[30:31], v[78:79]                  // 00000000BA60: D3B1404E 18029D1E
	v_pk_mul_f32 v[80:81], v[30:31], v[80:81]                  // 00000000BA68: D3B14050 1802A11E
	v_pk_mul_f32 v[82:83], v[30:31], v[82:83]                  // 00000000BA70: D3B14052 1802A51E
	v_pk_mul_f32 v[84:85], v[30:31], v[84:85]                  // 00000000BA78: D3B14054 1802A91E
	v_pk_mul_f32 v[86:87], v[30:31], v[86:87]                  // 00000000BA80: D3B14056 1802AD1E
	v_pk_mul_f32 v[88:89], v[30:31], v[88:89]                  // 00000000BA88: D3B14058 1802B11E
	v_pk_mul_f32 v[90:91], v[30:31], v[90:91]                  // 00000000BA90: D3B1405A 1802B51E
	v_pk_mul_f32 v[92:93], v[30:31], v[92:93]                  // 00000000BA98: D3B1405C 1802B91E
	v_pk_mul_f32 v[94:95], v[30:31], v[94:95]                  // 00000000BAA0: D3B1405E 1802BD1E
	v_pk_mul_f32 v[96:97], v[30:31], v[96:97]                  // 00000000BAA8: D3B14060 1802C11E
	v_pk_mul_f32 v[98:99], v[30:31], v[98:99]                  // 00000000BAB0: D3B14062 1802C51E
	v_pk_mul_f32 v[100:101], v[30:31], v[100:101]              // 00000000BAB8: D3B14064 1802C91E
	v_pk_mul_f32 v[102:103], v[30:31], v[102:103]              // 00000000BAC0: D3B14066 1802CD1E
	v_pk_mul_f32 v[104:105], v[30:31], v[104:105]              // 00000000BAC8: D3B14068 1802D11E
	v_pk_mul_f32 v[106:107], v[30:31], v[106:107]              // 00000000BAD0: D3B1406A 1802D51E
	v_pk_mul_f32 v[108:109], v[30:31], v[108:109]              // 00000000BAD8: D3B1406C 1802D91E
	v_pk_mul_f32 v[110:111], v[30:31], v[110:111]              // 00000000BAE0: D3B1406E 1802DD1E
	v_pk_mul_f32 v[112:113], v[30:31], v[112:113]              // 00000000BAE8: D3B14070 1802E11E
	v_pk_mul_f32 v[114:115], v[30:31], v[114:115]              // 00000000BAF0: D3B14072 1802E51E
	v_pk_mul_f32 v[116:117], v[30:31], v[116:117]              // 00000000BAF8: D3B14074 1802E91E
	v_pk_mul_f32 v[118:119], v[30:31], v[118:119]              // 00000000BB00: D3B14076 1802ED1E
	v_pk_mul_f32 v[120:121], v[30:31], v[120:121]              // 00000000BB08: D3B14078 1802F11E
	v_pk_mul_f32 v[122:123], v[30:31], v[122:123]              // 00000000BB10: D3B1407A 1802F51E
	v_pk_mul_f32 v[124:125], v[30:31], v[124:125]              // 00000000BB18: D3B1407C 1802F91E
	v_pk_mul_f32 v[126:127], v[30:31], v[126:127]              // 00000000BB20: D3B1407E 1802FD1E
	v_pk_mul_f32 v[128:129], v[30:31], v[128:129]              // 00000000BB28: D3B14080 1803011E
	v_pk_mul_f32 v[130:131], v[30:31], v[130:131]              // 00000000BB30: D3B14082 1803051E
	v_pk_mul_f32 v[132:133], v[30:31], v[132:133]              // 00000000BB38: D3B14084 1803091E
	v_pk_mul_f32 v[134:135], v[30:31], v[134:135]              // 00000000BB40: D3B14086 18030D1E
	v_pk_mul_f32 v[136:137], v[30:31], v[136:137]              // 00000000BB48: D3B14088 1803111E
	v_pk_mul_f32 v[138:139], v[30:31], v[138:139]              // 00000000BB50: D3B1408A 1803151E
	v_pk_mul_f32 v[140:141], v[30:31], v[140:141]              // 00000000BB58: D3B1408C 1803191E
	v_pk_mul_f32 v[142:143], v[30:31], v[142:143]              // 00000000BB60: D3B1408E 18031D1E
	v_pk_mul_f32 v[144:145], v[30:31], v[144:145]              // 00000000BB68: D3B14090 1803211E
	v_pk_mul_f32 v[146:147], v[30:31], v[146:147]              // 00000000BB70: D3B14092 1803251E
	v_pk_mul_f32 v[148:149], v[30:31], v[148:149]              // 00000000BB78: D3B14094 1803291E
	v_pk_mul_f32 v[150:151], v[30:31], v[150:151]              // 00000000BB80: D3B14096 18032D1E
	v_pk_mul_f32 v[152:153], v[30:31], v[152:153]              // 00000000BB88: D3B14098 1803311E
	v_pk_mul_f32 v[154:155], v[30:31], v[154:155]              // 00000000BB90: D3B1409A 1803351E
	v_pk_mul_f32 v[156:157], v[30:31], v[156:157]              // 00000000BB98: D3B1409C 1803391E
	v_pk_mul_f32 v[158:159], v[30:31], v[158:159]              // 00000000BBA0: D3B1409E 18033D1E
	v_pk_mul_f32 v[160:161], v[30:31], v[160:161]              // 00000000BBA8: D3B140A0 1803411E
	v_pk_mul_f32 v[162:163], v[30:31], v[162:163]              // 00000000BBB0: D3B140A2 1803451E
	v_pk_mul_f32 v[164:165], v[30:31], v[164:165]              // 00000000BBB8: D3B140A4 1803491E
	v_pk_mul_f32 v[166:167], v[30:31], v[166:167]              // 00000000BBC0: D3B140A6 18034D1E
	v_pk_mul_f32 v[168:169], v[30:31], v[168:169]              // 00000000BBC8: D3B140A8 1803511E
	v_pk_mul_f32 v[170:171], v[30:31], v[170:171]              // 00000000BBD0: D3B140AA 1803551E
	v_pk_mul_f32 v[172:173], v[30:31], v[172:173]              // 00000000BBD8: D3B140AC 1803591E
	v_pk_mul_f32 v[174:175], v[30:31], v[174:175]              // 00000000BBE0: D3B140AE 18035D1E
	v_pk_mul_f32 v[176:177], v[30:31], v[176:177]              // 00000000BBE8: D3B140B0 1803611E
	s_waitcnt lgkmcnt(0)                                       // 00000000BBF0: BF8CC07F
	v_mfma_f32_16x16x32_bf16 v[50:53], a[144:147], v[42:45], v[50:53]// 00000000BBF4: D3B50032 0CCA5590
	v_mfma_f32_16x16x32_bf16 v[54:57], a[148:151], v[42:45], v[54:57]// 00000000BBFC: D3B50036 0CDA5594
	v_mfma_f32_16x16x32_bf16 v[58:61], a[152:155], v[42:45], v[58:61]// 00000000BC04: D3B5003A 0CEA5598
	v_mfma_f32_16x16x32_bf16 v[62:65], a[156:159], v[42:45], v[62:65]// 00000000BC0C: D3B5003E 0CFA559C
	v_mfma_f32_16x16x32_bf16 v[66:69], a[160:163], v[42:45], v[66:69]// 00000000BC14: D3B50042 0D0A55A0
	v_mfma_f32_16x16x32_bf16 v[70:73], a[164:167], v[42:45], v[70:73]// 00000000BC1C: D3B50046 0D1A55A4
	v_mfma_f32_16x16x32_bf16 v[74:77], a[168:171], v[42:45], v[74:77]// 00000000BC24: D3B5004A 0D2A55A8
	v_mfma_f32_16x16x32_bf16 v[78:81], a[172:175], v[42:45], v[78:81]// 00000000BC2C: D3B5004E 0D3A55AC
	v_mfma_f32_16x16x32_bf16 v[82:85], a[176:179], v[42:45], v[82:85]// 00000000BC34: D3B50052 0D4A55B0
	v_mfma_f32_16x16x32_bf16 v[86:89], a[180:183], v[42:45], v[86:89]// 00000000BC3C: D3B50056 0D5A55B4
	v_mfma_f32_16x16x32_bf16 v[90:93], a[184:187], v[42:45], v[90:93]// 00000000BC44: D3B5005A 0D6A55B8
	ds_read_b64_tr_b16 a[144:145], v10 offset:8192             // 00000000BC4C: DBC62000 9000000A
	ds_read_b64_tr_b16 a[146:147], v10 offset:8448             // 00000000BC54: DBC62100 9200000A
	ds_read_b64_tr_b16 a[148:149], v11 offset:8192             // 00000000BC5C: DBC62000 9400000B
	ds_read_b64_tr_b16 a[150:151], v11 offset:8448             // 00000000BC64: DBC62100 9600000B
	v_mfma_f32_16x16x32_bf16 v[94:97], a[188:191], v[42:45], v[94:97]// 00000000BC6C: D3B5005E 0D7A55BC
	ds_read_b64_tr_b16 a[152:153], v10 offset:9216             // 00000000BC74: DBC62400 9800000A
	ds_read_b64_tr_b16 a[154:155], v10 offset:9472             // 00000000BC7C: DBC62500 9A00000A
	ds_read_b64_tr_b16 a[156:157], v11 offset:9216             // 00000000BC84: DBC62400 9C00000B
	ds_read_b64_tr_b16 a[158:159], v11 offset:9472             // 00000000BC8C: DBC62500 9E00000B
	v_mfma_f32_16x16x32_bf16 v[98:101], a[192:195], v[42:45], v[98:101]// 00000000BC94: D3B50062 0D8A55C0
	ds_read_b64_tr_b16 a[160:161], v10 offset:10240            // 00000000BC9C: DBC62800 A000000A
	ds_read_b64_tr_b16 a[162:163], v10 offset:10496            // 00000000BCA4: DBC62900 A200000A
	ds_read_b64_tr_b16 a[164:165], v11 offset:10240            // 00000000BCAC: DBC62800 A400000B
	ds_read_b64_tr_b16 a[166:167], v11 offset:10496            // 00000000BCB4: DBC62900 A600000B
	v_mfma_f32_16x16x32_bf16 v[102:105], a[196:199], v[42:45], v[102:105]// 00000000BCBC: D3B50066 0D9A55C4
	ds_read_b64_tr_b16 a[168:169], v10 offset:11264            // 00000000BCC4: DBC62C00 A800000A
	ds_read_b64_tr_b16 a[170:171], v10 offset:11520            // 00000000BCCC: DBC62D00 AA00000A
	ds_read_b64_tr_b16 a[172:173], v11 offset:11264            // 00000000BCD4: DBC62C00 AC00000B
	ds_read_b64_tr_b16 a[174:175], v11 offset:11520            // 00000000BCDC: DBC62D00 AE00000B
	v_mfma_f32_16x16x32_bf16 v[106:109], a[200:203], v[42:45], v[106:109]// 00000000BCE4: D3B5006A 0DAA55C8
	ds_read_b64_tr_b16 a[176:177], v10 offset:12288            // 00000000BCEC: DBC63000 B000000A
	ds_read_b64_tr_b16 a[178:179], v10 offset:12544            // 00000000BCF4: DBC63100 B200000A
	ds_read_b64_tr_b16 a[180:181], v11 offset:12288            // 00000000BCFC: DBC63000 B400000B
	ds_read_b64_tr_b16 a[182:183], v11 offset:12544            // 00000000BD04: DBC63100 B600000B
	v_mfma_f32_16x16x32_bf16 v[110:113], a[204:207], v[42:45], v[110:113]// 00000000BD0C: D3B5006E 0DBA55CC
	ds_read_b64_tr_b16 a[184:185], v10 offset:13312            // 00000000BD14: DBC63400 B800000A
	ds_read_b64_tr_b16 a[186:187], v10 offset:13568            // 00000000BD1C: DBC63500 BA00000A
	ds_read_b64_tr_b16 a[188:189], v11 offset:13312            // 00000000BD24: DBC63400 BC00000B
	ds_read_b64_tr_b16 a[190:191], v11 offset:13568            // 00000000BD2C: DBC63500 BE00000B
	ds_read_b64_tr_b16 a[192:193], v10 offset:14336            // 00000000BD34: DBC63800 C000000A
	ds_read_b64_tr_b16 a[194:195], v10 offset:14592            // 00000000BD3C: DBC63900 C200000A
	ds_read_b64_tr_b16 a[196:197], v11 offset:14336            // 00000000BD44: DBC63800 C400000B
	ds_read_b64_tr_b16 a[198:199], v11 offset:14592            // 00000000BD4C: DBC63900 C600000B
	ds_read_b64_tr_b16 a[200:201], v10 offset:15360            // 00000000BD54: DBC63C00 C800000A
	ds_read_b64_tr_b16 a[202:203], v10 offset:15616            // 00000000BD5C: DBC63D00 CA00000A
	ds_read_b64_tr_b16 a[204:205], v11 offset:15360            // 00000000BD64: DBC63C00 CC00000B
	ds_read_b64_tr_b16 a[206:207], v11 offset:15616            // 00000000BD6C: DBC63D00 CE00000B
	s_waitcnt lgkmcnt(0)                                       // 00000000BD74: BF8CC07F
	v_mfma_f32_16x16x32_bf16 v[114:117], a[144:147], v[42:45], v[114:117]// 00000000BD78: D3B50072 0DCA5590
	v_mfma_f32_16x16x32_bf16 v[118:121], a[148:151], v[42:45], v[118:121]// 00000000BD80: D3B50076 0DDA5594
	v_mfma_f32_16x16x32_bf16 v[122:125], a[152:155], v[42:45], v[122:125]// 00000000BD88: D3B5007A 0DEA5598
	v_mfma_f32_16x16x32_bf16 v[126:129], a[156:159], v[42:45], v[126:129]// 00000000BD90: D3B5007E 0DFA559C
	v_mfma_f32_16x16x32_bf16 v[130:133], a[160:163], v[42:45], v[130:133]// 00000000BD98: D3B50082 0E0A55A0
	v_mfma_f32_16x16x32_bf16 v[134:137], a[164:167], v[42:45], v[134:137]// 00000000BDA0: D3B50086 0E1A55A4
	v_mfma_f32_16x16x32_bf16 v[138:141], a[168:171], v[42:45], v[138:141]// 00000000BDA8: D3B5008A 0E2A55A8
	v_mfma_f32_16x16x32_bf16 v[142:145], a[172:175], v[42:45], v[142:145]// 00000000BDB0: D3B5008E 0E3A55AC
	v_mfma_f32_16x16x32_bf16 v[146:149], a[176:179], v[42:45], v[146:149]// 00000000BDB8: D3B50092 0E4A55B0
	v_mfma_f32_16x16x32_bf16 v[150:153], a[180:183], v[42:45], v[150:153]// 00000000BDC0: D3B50096 0E5A55B4
	v_mfma_f32_16x16x32_bf16 v[154:157], a[184:187], v[42:45], v[154:157]// 00000000BDC8: D3B5009A 0E6A55B8
	v_mfma_f32_16x16x32_bf16 v[158:161], a[188:191], v[42:45], v[158:161]// 00000000BDD0: D3B5009E 0E7A55BC
	v_mfma_f32_16x16x32_bf16 v[162:165], a[192:195], v[42:45], v[162:165]// 00000000BDD8: D3B500A2 0E8A55C0
	v_mfma_f32_16x16x32_bf16 v[166:169], a[196:199], v[42:45], v[166:169]// 00000000BDE0: D3B500A6 0E9A55C4
	v_mfma_f32_16x16x32_bf16 v[170:173], a[200:203], v[42:45], v[170:173]// 00000000BDE8: D3B500AA 0EAA55C8
	v_mfma_f32_16x16x32_bf16 v[174:177], a[204:207], v[42:45], v[174:177]// 00000000BDF0: D3B500AE 0EBA55CC
	s_nop 8                                                    // 00000000BDF8: BF800008
	s_branch label_AD18                                        // 00000000BDFC: BF820484

000000000000be00 <label_9900>:
	s_waitcnt lgkmcnt(0)                                       // 00000000BE00: BF8CC07F
	v_mfma_f32_16x16x32_bf16 v[34:37], a[72:75], a[0:3], 0     // 00000000BE04: D3B50022 1A020148
	v_mfma_f32_16x16x32_bf16 v[34:37], a[76:79], a[4:7], v[34:37]// 00000000BE0C: D3B50022 1C8A094C
	v_mfma_f32_16x16x32_bf16 v[34:37], a[80:83], a[8:11], v[34:37]// 00000000BE14: D3B50022 1C8A1150
	v_mfma_f32_16x16x32_bf16 v[34:37], a[84:87], a[12:15], v[34:37]// 00000000BE1C: D3B50022 1C8A1954
	v_mfma_f32_16x16x32_bf16 v[34:37], a[88:91], a[16:19], v[34:37]// 00000000BE24: D3B50022 1C8A2158
	v_mfma_f32_16x16x32_bf16 v[34:37], a[92:95], a[20:23], v[34:37]// 00000000BE2C: D3B50022 1C8A295C
	v_mfma_f32_16x16x32_bf16 v[34:37], a[96:99], a[24:27], v[34:37]// 00000000BE34: D3B50022 1C8A3160
	v_mfma_f32_16x16x32_bf16 v[34:37], a[100:103], a[28:31], v[34:37]// 00000000BE3C: D3B50022 1C8A3964
	ds_read_b128 a[72:75], v20 offset:18432                    // 00000000BE44: DBFE4800 48000014
	ds_read_b128 a[76:79], v20 offset:19456                    // 00000000BE4C: DBFE4C00 4C000014
	v_mfma_f32_16x16x32_bf16 v[34:37], a[104:107], a[32:35], v[34:37]// 00000000BE54: D3B50022 1C8A4168
	v_mfma_f32_16x16x32_bf16 v[34:37], a[108:111], a[36:39], v[34:37]// 00000000BE5C: D3B50022 1C8A496C
	ds_read_b128 a[80:83], v20 offset:20480                    // 00000000BE64: DBFE5000 50000014
	ds_read_b128 a[84:87], v20 offset:21504                    // 00000000BE6C: DBFE5400 54000014
	v_mfma_f32_16x16x32_bf16 v[34:37], a[112:115], a[40:43], v[34:37]// 00000000BE74: D3B50022 1C8A5170
	v_mfma_f32_16x16x32_bf16 v[34:37], a[116:119], a[44:47], v[34:37]// 00000000BE7C: D3B50022 1C8A5974
	ds_read_b128 a[88:91], v20 offset:22528                    // 00000000BE84: DBFE5800 58000014
	ds_read_b128 a[92:95], v20 offset:23552                    // 00000000BE8C: DBFE5C00 5C000014
	v_mfma_f32_16x16x32_bf16 v[34:37], a[120:123], a[48:51], v[34:37]// 00000000BE94: D3B50022 1C8A6178
	v_mfma_f32_16x16x32_bf16 v[34:37], a[124:127], a[52:55], v[34:37]// 00000000BE9C: D3B50022 1C8A697C
	ds_read_b128 a[96:99], v20 offset:24576                    // 00000000BEA4: DBFE6000 60000014
	ds_read_b128 a[100:103], v20 offset:25600                  // 00000000BEAC: DBFE6400 64000014
	v_mfma_f32_16x16x32_bf16 v[34:37], a[128:131], a[56:59], v[34:37]// 00000000BEB4: D3B50022 1C8A7180
	v_mfma_f32_16x16x32_bf16 v[34:37], a[132:135], a[60:63], v[34:37]// 00000000BEBC: D3B50022 1C8A7984
	ds_read_b128 a[104:107], v20 offset:26624                  // 00000000BEC4: DBFE6800 68000014
	ds_read_b128 a[108:111], v20 offset:27648                  // 00000000BECC: DBFE6C00 6C000014
	v_mfma_f32_16x16x32_bf16 v[34:37], a[136:139], a[64:67], v[34:37]// 00000000BED4: D3B50022 1C8A8188
	v_mfma_f32_16x16x32_bf16 v[34:37], a[140:143], a[68:71], v[34:37]// 00000000BEDC: D3B50022 1C8A898C
	ds_read_b128 a[112:115], v20 offset:28672                  // 00000000BEE4: DBFE7000 70000014
	ds_read_b128 a[116:119], v20 offset:29696                  // 00000000BEEC: DBFE7400 74000014
	ds_read_b128 a[120:123], v20 offset:30720                  // 00000000BEF4: DBFE7800 78000014
	ds_read_b128 a[124:127], v20 offset:31744                  // 00000000BEFC: DBFE7C00 7C000014
	ds_read_b128 a[128:131], v20 offset:32768                  // 00000000BF04: DBFE8000 80000014
	ds_read_b128 a[132:135], v20 offset:33792                  // 00000000BF0C: DBFE8400 84000014
	ds_read_b128 a[136:139], v20 offset:34816                  // 00000000BF14: DBFE8800 88000014
	ds_read_b128 a[140:143], v20 offset:35840                  // 00000000BF1C: DBFE8C00 8C000014
	s_waitcnt lgkmcnt(0)                                       // 00000000BF24: BF8CC07F
	v_mfma_f32_16x16x32_bf16 v[38:41], a[72:75], a[0:3], 0     // 00000000BF28: D3B50026 1A020148
	ds_read_b64_tr_b16 a[144:145], v12                         // 00000000BF30: DBC60000 9000000C
	ds_read_b64_tr_b16 a[146:147], v12 offset:256              // 00000000BF38: DBC60100 9200000C
	ds_read_b64_tr_b16 a[148:149], v13                         // 00000000BF40: DBC60000 9400000D
	ds_read_b64_tr_b16 a[150:151], v13 offset:256              // 00000000BF48: DBC60100 9600000D
	v_mfma_f32_16x16x32_bf16 v[38:41], a[76:79], a[4:7], v[38:41]// 00000000BF50: D3B50026 1C9A094C
	ds_read_b64_tr_b16 a[152:153], v12 offset:1024             // 00000000BF58: DBC60400 9800000C
	ds_read_b64_tr_b16 a[154:155], v12 offset:1280             // 00000000BF60: DBC60500 9A00000C
	ds_read_b64_tr_b16 a[156:157], v13 offset:1024             // 00000000BF68: DBC60400 9C00000D
	ds_read_b64_tr_b16 a[158:159], v13 offset:1280             // 00000000BF70: DBC60500 9E00000D
	v_mfma_f32_16x16x32_bf16 v[38:41], a[80:83], a[8:11], v[38:41]// 00000000BF78: D3B50026 1C9A1150
	ds_read_b64_tr_b16 a[160:161], v12 offset:2048             // 00000000BF80: DBC60800 A000000C
	ds_read_b64_tr_b16 a[162:163], v12 offset:2304             // 00000000BF88: DBC60900 A200000C
	ds_read_b64_tr_b16 a[164:165], v13 offset:2048             // 00000000BF90: DBC60800 A400000D
	ds_read_b64_tr_b16 a[166:167], v13 offset:2304             // 00000000BF98: DBC60900 A600000D
	v_mfma_f32_16x16x32_bf16 v[38:41], a[84:87], a[12:15], v[38:41]// 00000000BFA0: D3B50026 1C9A1954
	ds_read_b64_tr_b16 a[168:169], v12 offset:3072             // 00000000BFA8: DBC60C00 A800000C
	ds_read_b64_tr_b16 a[170:171], v12 offset:3328             // 00000000BFB0: DBC60D00 AA00000C
	ds_read_b64_tr_b16 a[172:173], v13 offset:3072             // 00000000BFB8: DBC60C00 AC00000D
	ds_read_b64_tr_b16 a[174:175], v13 offset:3328             // 00000000BFC0: DBC60D00 AE00000D
	v_mfma_f32_16x16x32_bf16 v[38:41], a[88:91], a[16:19], v[38:41]// 00000000BFC8: D3B50026 1C9A2158
	ds_read_b64_tr_b16 a[176:177], v12 offset:4096             // 00000000BFD0: DBC61000 B000000C
	ds_read_b64_tr_b16 a[178:179], v12 offset:4352             // 00000000BFD8: DBC61100 B200000C
	ds_read_b64_tr_b16 a[180:181], v13 offset:4096             // 00000000BFE0: DBC61000 B400000D
	ds_read_b64_tr_b16 a[182:183], v13 offset:4352             // 00000000BFE8: DBC61100 B600000D
	v_mfma_f32_16x16x32_bf16 v[38:41], a[92:95], a[20:23], v[38:41]// 00000000BFF0: D3B50026 1C9A295C
	ds_read_b64_tr_b16 a[184:185], v12 offset:5120             // 00000000BFF8: DBC61400 B800000C
	ds_read_b64_tr_b16 a[186:187], v12 offset:5376             // 00000000C000: DBC61500 BA00000C
	ds_read_b64_tr_b16 a[188:189], v13 offset:5120             // 00000000C008: DBC61400 BC00000D
	ds_read_b64_tr_b16 a[190:191], v13 offset:5376             // 00000000C010: DBC61500 BE00000D
	v_mfma_f32_16x16x32_bf16 v[38:41], a[96:99], a[24:27], v[38:41]// 00000000C018: D3B50026 1C9A3160
	ds_read_b64_tr_b16 a[192:193], v12 offset:6144             // 00000000C020: DBC61800 C000000C
	ds_read_b64_tr_b16 a[194:195], v12 offset:6400             // 00000000C028: DBC61900 C200000C
	ds_read_b64_tr_b16 a[196:197], v13 offset:6144             // 00000000C030: DBC61800 C400000D
	ds_read_b64_tr_b16 a[198:199], v13 offset:6400             // 00000000C038: DBC61900 C600000D
	v_mfma_f32_16x16x32_bf16 v[38:41], a[100:103], a[28:31], v[38:41]// 00000000C040: D3B50026 1C9A3964
	ds_read_b64_tr_b16 a[200:201], v12 offset:7168             // 00000000C048: DBC61C00 C800000C
	ds_read_b64_tr_b16 a[202:203], v12 offset:7424             // 00000000C050: DBC61D00 CA00000C
	ds_read_b64_tr_b16 a[204:205], v13 offset:7168             // 00000000C058: DBC61C00 CC00000D
	ds_read_b64_tr_b16 a[206:207], v13 offset:7424             // 00000000C060: DBC61D00 CE00000D
	v_mfma_f32_16x16x32_bf16 v[38:41], a[104:107], a[32:35], v[38:41]// 00000000C068: D3B50026 1C9A4168
	v_mfma_f32_16x16x32_bf16 v[38:41], a[108:111], a[36:39], v[38:41]// 00000000C070: D3B50026 1C9A496C
	v_mfma_f32_16x16x32_bf16 v[38:41], a[112:115], a[40:43], v[38:41]// 00000000C078: D3B50026 1C9A5170
	v_mfma_f32_16x16x32_bf16 v[38:41], a[116:119], a[44:47], v[38:41]// 00000000C080: D3B50026 1C9A5974
	v_mfma_f32_16x16x32_bf16 v[38:41], a[120:123], a[48:51], v[38:41]// 00000000C088: D3B50026 1C9A6178
	v_mfma_f32_16x16x32_bf16 v[38:41], a[124:127], a[52:55], v[38:41]// 00000000C090: D3B50026 1C9A697C
	v_mfma_f32_16x16x32_bf16 v[38:41], a[128:131], a[56:59], v[38:41]// 00000000C098: D3B50026 1C9A7180
	v_mfma_f32_16x16x32_bf16 v[38:41], a[132:135], a[60:63], v[38:41]// 00000000C0A0: D3B50026 1C9A7984
	v_mfma_f32_16x16x32_bf16 v[38:41], a[136:139], a[64:67], v[38:41]// 00000000C0A8: D3B50026 1C9A8188
	v_mfma_f32_16x16x32_bf16 v[38:41], a[140:143], a[68:71], v[38:41]// 00000000C0B0: D3B50026 1C9A898C
	s_nop 8                                                    // 00000000C0B8: BF800008
	s_and_b32 s56, s48, 0xff                                   // 00000000C0BC: 8638FF30 000000FF
	v_mov_b32_e32 v29, s56                                     // 00000000C0C4: 7E3A0238
	v_lshrrev_b32_e32 v18, 4, v0                               // 00000000C0C8: 20240084
	v_mul_i32_i24_e32 v18, 4, v18                              // 00000000C0CC: 0C242484
	v_add_u32_e32 v19, 1, v18                                  // 00000000C0D0: 68262481
	v_add_u32_e32 v20, 2, v18                                  // 00000000C0D4: 68282482
	v_add_u32_e32 v21, 3, v18                                  // 00000000C0D8: 682A2483
	v_mov_b32_e32 v28, 0xff800000                              // 00000000C0DC: 7E3802FF FF800000
	v_cmp_lt_u32_e64 s[36:37], v18, v29                        // 00000000C0E4: D0C90024 00023B12
	v_add_u32_e32 v18, 16, v18                                 // 00000000C0EC: 68242490
	s_nop 0                                                    // 00000000C0F0: BF800000
	v_cndmask_b32_e64 v34, v28, v34, s[36:37]                  // 00000000C0F4: D1000022 0092451C
	v_cmp_lt_u32_e64 s[36:37], v19, v29                        // 00000000C0FC: D0C90024 00023B13
	v_add_u32_e32 v19, 16, v19                                 // 00000000C104: 68262690
	s_nop 0                                                    // 00000000C108: BF800000
	v_cndmask_b32_e64 v35, v28, v35, s[36:37]                  // 00000000C10C: D1000023 0092471C
	v_cmp_lt_u32_e64 s[36:37], v20, v29                        // 00000000C114: D0C90024 00023B14
	v_add_u32_e32 v20, 16, v20                                 // 00000000C11C: 68282890
	s_nop 0                                                    // 00000000C120: BF800000
	v_cndmask_b32_e64 v36, v28, v36, s[36:37]                  // 00000000C124: D1000024 0092491C
	v_cmp_lt_u32_e64 s[36:37], v21, v29                        // 00000000C12C: D0C90024 00023B15
	v_add_u32_e32 v21, 16, v21                                 // 00000000C134: 682A2A90
	s_nop 0                                                    // 00000000C138: BF800000
	v_cndmask_b32_e64 v37, v28, v37, s[36:37]                  // 00000000C13C: D1000025 00924B1C
	v_cmp_lt_u32_e64 s[36:37], v18, v29                        // 00000000C144: D0C90024 00023B12
	v_add_u32_e32 v18, 16, v18                                 // 00000000C14C: 68242490
	s_nop 0                                                    // 00000000C150: BF800000
	v_cndmask_b32_e64 v38, v28, v38, s[36:37]                  // 00000000C154: D1000026 00924D1C
	v_cmp_lt_u32_e64 s[36:37], v19, v29                        // 00000000C15C: D0C90024 00023B13
	v_add_u32_e32 v19, 16, v19                                 // 00000000C164: 68262690
	s_nop 0                                                    // 00000000C168: BF800000
	v_cndmask_b32_e64 v39, v28, v39, s[36:37]                  // 00000000C16C: D1000027 00924F1C
	v_cmp_lt_u32_e64 s[36:37], v20, v29                        // 00000000C174: D0C90024 00023B14
	v_add_u32_e32 v20, 16, v20                                 // 00000000C17C: 68282890
	s_nop 0                                                    // 00000000C180: BF800000
	v_cndmask_b32_e64 v40, v28, v40, s[36:37]                  // 00000000C184: D1000028 0092511C
	v_cmp_lt_u32_e64 s[36:37], v21, v29                        // 00000000C18C: D0C90024 00023B15
	v_add_u32_e32 v21, 16, v21                                 // 00000000C194: 682A2A90
	s_nop 0                                                    // 00000000C198: BF800000
	v_cndmask_b32_e64 v41, v28, v41, s[36:37]                  // 00000000C19C: D1000029 0092531C
	s_nop 2                                                    // 00000000C1A4: BF800002
	v_mov_b32_e32 v29, v34                                     // 00000000C1A8: 7E3A0322
	v_max3_f32 v29, v34, v35, v29                              // 00000000C1AC: D1D3001D 04764722
	v_max3_f32 v29, v36, v37, v29                              // 00000000C1B4: D1D3001D 04764B24
	v_max3_f32 v29, v38, v39, v29                              // 00000000C1BC: D1D3001D 04764F26
	v_max3_f32 v29, v40, v41, v29                              // 00000000C1C4: D1D3001D 04765328
	v_mov_b32_e32 v28, v29                                     // 00000000C1CC: 7E38031D
	v_mov_b32_e32 v29, v29                                     // 00000000C1D0: 7E3A031D
	s_nop 1                                                    // 00000000C1D4: BF800001
	v_permlane16_swap_b32_e32 v28, v29                         // 00000000C1D8: 7E38B31D
	v_mov_b32_e32 v31, v28                                     // 00000000C1DC: 7E3E031C
	v_mov_b32_e32 v30, v29                                     // 00000000C1E0: 7E3C031D
	s_nop 1                                                    // 00000000C1E4: BF800001
	v_permlane32_swap_b32_e32 v28, v29                         // 00000000C1E8: 7E38B51D
	v_permlane32_swap_b32_e32 v30, v31                         // 00000000C1EC: 7E3CB51F
	v_max3_f32 v29, v28, v29, v29                              // 00000000C1F0: D1D3001D 04763B1C
	v_max3_f32 v29, v30, v31, v29                              // 00000000C1F8: D1D3001D 04763F1E
	v_mov_b32_e32 v28, 0xff800000                              // 00000000C200: 7E3802FF FF800000
	v_cmp_eq_u32_e64 s[36:37], v28, v2                         // 00000000C208: D0CA0024 0002051C
	v_max_f32_e32 v29, v29, v2                                 // 00000000C210: 163A051D
	v_sub_f32_e32 v16, v2, v29                                 // 00000000C214: 04203B02
	v_cndmask_b32_e64 v16, v16, 0, s[36:37]                    // 00000000C218: D1000010 00910110
	v_mov_b32_e32 v2, v29                                      // 00000000C220: 7E04031D
	v_mul_f32_e32 v29, s5, v29                                 // 00000000C224: 0A3A3A05
	v_mul_f32_e32 v16, s5, v16                                 // 00000000C228: 0A202005
	v_exp_f32_e32 v16, v16                                     // 00000000C22C: 7E204110
	v_fma_f32 v34, v34, s5, -v29                               // 00000000C230: D1CB0022 84740B22
	v_fma_f32 v35, v35, s5, -v29                               // 00000000C238: D1CB0023 84740B23
	v_fma_f32 v36, v36, s5, -v29                               // 00000000C240: D1CB0024 84740B24
	v_fma_f32 v37, v37, s5, -v29                               // 00000000C248: D1CB0025 84740B25
	v_fma_f32 v38, v38, s5, -v29                               // 00000000C250: D1CB0026 84740B26
	v_fma_f32 v39, v39, s5, -v29                               // 00000000C258: D1CB0027 84740B27
	v_fma_f32 v40, v40, s5, -v29                               // 00000000C260: D1CB0028 84740B28
	v_fma_f32 v41, v41, s5, -v29                               // 00000000C268: D1CB0029 84740B29
	v_exp_f32_e32 v34, v34                                     // 00000000C270: 7E444122
	v_exp_f32_e32 v35, v35                                     // 00000000C274: 7E464123
	v_exp_f32_e32 v36, v36                                     // 00000000C278: 7E484124
	v_exp_f32_e32 v37, v37                                     // 00000000C27C: 7E4A4125
	v_exp_f32_e32 v38, v38                                     // 00000000C280: 7E4C4126
	v_exp_f32_e32 v39, v39                                     // 00000000C284: 7E4E4127
	v_exp_f32_e32 v40, v40                                     // 00000000C288: 7E504128
	v_exp_f32_e32 v41, v41                                     // 00000000C28C: 7E524129
	v_mul_f32_e32 v4, v16, v4                                  // 00000000C290: 0A080910
	v_mov_b32_e32 v28, v34                                     // 00000000C294: 7E380322
	v_add_f32_e32 v28, v35, v28                                // 00000000C298: 02383923
	v_add_f32_e32 v28, v36, v28                                // 00000000C29C: 02383924
	v_add_f32_e32 v28, v37, v28                                // 00000000C2A0: 02383925
	v_add_f32_e32 v28, v38, v28                                // 00000000C2A4: 02383926
	v_add_f32_e32 v28, v39, v28                                // 00000000C2A8: 02383927
	v_add_f32_e32 v28, v40, v28                                // 00000000C2AC: 02383928
	v_add_f32_e32 v28, v41, v28                                // 00000000C2B0: 02383929
	v_add_f32_e32 v4, v28, v4                                  // 00000000C2B4: 0208091C
	v_cvt_pk_bf16_f32 v34, v34, v35                            // 00000000C2B8: D2680022 00024722
	v_cvt_pk_bf16_f32 v35, v36, v37                            // 00000000C2C0: D2680023 00024B24
	v_cvt_pk_bf16_f32 v36, v38, v39                            // 00000000C2C8: D2680024 00024F26
	v_cvt_pk_bf16_f32 v37, v40, v41                            // 00000000C2D0: D2680025 00025328
	s_nop 0                                                    // 00000000C2D8: BF800000
	v_permlane32_swap_b32_e32 v34, v36                         // 00000000C2DC: 7E44B524
	v_permlane32_swap_b32_e32 v35, v37                         // 00000000C2E0: 7E46B525
	s_nop 0                                                    // 00000000C2E4: BF800000
	v_permlane16_swap_b32_e32 v34, v36                         // 00000000C2E8: 7E44B324
	v_permlane16_swap_b32_e32 v35, v37                         // 00000000C2EC: 7E46B325
	v_mov_b32_e32 v30, v16                                     // 00000000C2F0: 7E3C0310
	v_mov_b32_e32 v31, v16                                     // 00000000C2F4: 7E3E0310
	v_pk_mul_f32 v[50:51], v[30:31], v[50:51]                  // 00000000C2F8: D3B14032 1802651E
	v_pk_mul_f32 v[52:53], v[30:31], v[52:53]                  // 00000000C300: D3B14034 1802691E
	v_pk_mul_f32 v[54:55], v[30:31], v[54:55]                  // 00000000C308: D3B14036 18026D1E
	v_pk_mul_f32 v[56:57], v[30:31], v[56:57]                  // 00000000C310: D3B14038 1802711E
	v_pk_mul_f32 v[58:59], v[30:31], v[58:59]                  // 00000000C318: D3B1403A 1802751E
	v_pk_mul_f32 v[60:61], v[30:31], v[60:61]                  // 00000000C320: D3B1403C 1802791E
	v_pk_mul_f32 v[62:63], v[30:31], v[62:63]                  // 00000000C328: D3B1403E 18027D1E
	v_pk_mul_f32 v[64:65], v[30:31], v[64:65]                  // 00000000C330: D3B14040 1802811E
	v_pk_mul_f32 v[66:67], v[30:31], v[66:67]                  // 00000000C338: D3B14042 1802851E
	v_pk_mul_f32 v[68:69], v[30:31], v[68:69]                  // 00000000C340: D3B14044 1802891E
	v_pk_mul_f32 v[70:71], v[30:31], v[70:71]                  // 00000000C348: D3B14046 18028D1E
	v_pk_mul_f32 v[72:73], v[30:31], v[72:73]                  // 00000000C350: D3B14048 1802911E
	v_pk_mul_f32 v[74:75], v[30:31], v[74:75]                  // 00000000C358: D3B1404A 1802951E
	v_pk_mul_f32 v[76:77], v[30:31], v[76:77]                  // 00000000C360: D3B1404C 1802991E
	v_pk_mul_f32 v[78:79], v[30:31], v[78:79]                  // 00000000C368: D3B1404E 18029D1E
	v_pk_mul_f32 v[80:81], v[30:31], v[80:81]                  // 00000000C370: D3B14050 1802A11E
	v_pk_mul_f32 v[82:83], v[30:31], v[82:83]                  // 00000000C378: D3B14052 1802A51E
	v_pk_mul_f32 v[84:85], v[30:31], v[84:85]                  // 00000000C380: D3B14054 1802A91E
	v_pk_mul_f32 v[86:87], v[30:31], v[86:87]                  // 00000000C388: D3B14056 1802AD1E
	v_pk_mul_f32 v[88:89], v[30:31], v[88:89]                  // 00000000C390: D3B14058 1802B11E
	v_pk_mul_f32 v[90:91], v[30:31], v[90:91]                  // 00000000C398: D3B1405A 1802B51E
	v_pk_mul_f32 v[92:93], v[30:31], v[92:93]                  // 00000000C3A0: D3B1405C 1802B91E
	v_pk_mul_f32 v[94:95], v[30:31], v[94:95]                  // 00000000C3A8: D3B1405E 1802BD1E
	v_pk_mul_f32 v[96:97], v[30:31], v[96:97]                  // 00000000C3B0: D3B14060 1802C11E
	v_pk_mul_f32 v[98:99], v[30:31], v[98:99]                  // 00000000C3B8: D3B14062 1802C51E
	v_pk_mul_f32 v[100:101], v[30:31], v[100:101]              // 00000000C3C0: D3B14064 1802C91E
	v_pk_mul_f32 v[102:103], v[30:31], v[102:103]              // 00000000C3C8: D3B14066 1802CD1E
	v_pk_mul_f32 v[104:105], v[30:31], v[104:105]              // 00000000C3D0: D3B14068 1802D11E
	v_pk_mul_f32 v[106:107], v[30:31], v[106:107]              // 00000000C3D8: D3B1406A 1802D51E
	v_pk_mul_f32 v[108:109], v[30:31], v[108:109]              // 00000000C3E0: D3B1406C 1802D91E
	v_pk_mul_f32 v[110:111], v[30:31], v[110:111]              // 00000000C3E8: D3B1406E 1802DD1E
	v_pk_mul_f32 v[112:113], v[30:31], v[112:113]              // 00000000C3F0: D3B14070 1802E11E
	v_pk_mul_f32 v[114:115], v[30:31], v[114:115]              // 00000000C3F8: D3B14072 1802E51E
	v_pk_mul_f32 v[116:117], v[30:31], v[116:117]              // 00000000C400: D3B14074 1802E91E
	v_pk_mul_f32 v[118:119], v[30:31], v[118:119]              // 00000000C408: D3B14076 1802ED1E
	v_pk_mul_f32 v[120:121], v[30:31], v[120:121]              // 00000000C410: D3B14078 1802F11E
	v_pk_mul_f32 v[122:123], v[30:31], v[122:123]              // 00000000C418: D3B1407A 1802F51E
	v_pk_mul_f32 v[124:125], v[30:31], v[124:125]              // 00000000C420: D3B1407C 1802F91E
	v_pk_mul_f32 v[126:127], v[30:31], v[126:127]              // 00000000C428: D3B1407E 1802FD1E
	v_pk_mul_f32 v[128:129], v[30:31], v[128:129]              // 00000000C430: D3B14080 1803011E
	v_pk_mul_f32 v[130:131], v[30:31], v[130:131]              // 00000000C438: D3B14082 1803051E
	v_pk_mul_f32 v[132:133], v[30:31], v[132:133]              // 00000000C440: D3B14084 1803091E
	v_pk_mul_f32 v[134:135], v[30:31], v[134:135]              // 00000000C448: D3B14086 18030D1E
	v_pk_mul_f32 v[136:137], v[30:31], v[136:137]              // 00000000C450: D3B14088 1803111E
	v_pk_mul_f32 v[138:139], v[30:31], v[138:139]              // 00000000C458: D3B1408A 1803151E
	v_pk_mul_f32 v[140:141], v[30:31], v[140:141]              // 00000000C460: D3B1408C 1803191E
	v_pk_mul_f32 v[142:143], v[30:31], v[142:143]              // 00000000C468: D3B1408E 18031D1E
	v_pk_mul_f32 v[144:145], v[30:31], v[144:145]              // 00000000C470: D3B14090 1803211E
	v_pk_mul_f32 v[146:147], v[30:31], v[146:147]              // 00000000C478: D3B14092 1803251E
	v_pk_mul_f32 v[148:149], v[30:31], v[148:149]              // 00000000C480: D3B14094 1803291E
	v_pk_mul_f32 v[150:151], v[30:31], v[150:151]              // 00000000C488: D3B14096 18032D1E
	v_pk_mul_f32 v[152:153], v[30:31], v[152:153]              // 00000000C490: D3B14098 1803311E
	v_pk_mul_f32 v[154:155], v[30:31], v[154:155]              // 00000000C498: D3B1409A 1803351E
	v_pk_mul_f32 v[156:157], v[30:31], v[156:157]              // 00000000C4A0: D3B1409C 1803391E
	v_pk_mul_f32 v[158:159], v[30:31], v[158:159]              // 00000000C4A8: D3B1409E 18033D1E
	v_pk_mul_f32 v[160:161], v[30:31], v[160:161]              // 00000000C4B0: D3B140A0 1803411E
	v_pk_mul_f32 v[162:163], v[30:31], v[162:163]              // 00000000C4B8: D3B140A2 1803451E
	v_pk_mul_f32 v[164:165], v[30:31], v[164:165]              // 00000000C4C0: D3B140A4 1803491E
	v_pk_mul_f32 v[166:167], v[30:31], v[166:167]              // 00000000C4C8: D3B140A6 18034D1E
	v_pk_mul_f32 v[168:169], v[30:31], v[168:169]              // 00000000C4D0: D3B140A8 1803511E
	v_pk_mul_f32 v[170:171], v[30:31], v[170:171]              // 00000000C4D8: D3B140AA 1803551E
	v_pk_mul_f32 v[172:173], v[30:31], v[172:173]              // 00000000C4E0: D3B140AC 1803591E
	v_pk_mul_f32 v[174:175], v[30:31], v[174:175]              // 00000000C4E8: D3B140AE 18035D1E
	v_pk_mul_f32 v[176:177], v[30:31], v[176:177]              // 00000000C4F0: D3B140B0 1803611E
	s_waitcnt lgkmcnt(0)                                       // 00000000C4F8: BF8CC07F
	v_mfma_f32_16x16x32_bf16 v[50:53], a[144:147], v[34:37], v[50:53]// 00000000C4FC: D3B50032 0CCA4590
	v_mfma_f32_16x16x32_bf16 v[54:57], a[148:151], v[34:37], v[54:57]// 00000000C504: D3B50036 0CDA4594
	v_mfma_f32_16x16x32_bf16 v[58:61], a[152:155], v[34:37], v[58:61]// 00000000C50C: D3B5003A 0CEA4598
	v_mfma_f32_16x16x32_bf16 v[62:65], a[156:159], v[34:37], v[62:65]// 00000000C514: D3B5003E 0CFA459C
	v_mfma_f32_16x16x32_bf16 v[66:69], a[160:163], v[34:37], v[66:69]// 00000000C51C: D3B50042 0D0A45A0
	v_mfma_f32_16x16x32_bf16 v[70:73], a[164:167], v[34:37], v[70:73]// 00000000C524: D3B50046 0D1A45A4
	v_mfma_f32_16x16x32_bf16 v[74:77], a[168:171], v[34:37], v[74:77]// 00000000C52C: D3B5004A 0D2A45A8
	v_mfma_f32_16x16x32_bf16 v[78:81], a[172:175], v[34:37], v[78:81]// 00000000C534: D3B5004E 0D3A45AC
	v_mfma_f32_16x16x32_bf16 v[82:85], a[176:179], v[34:37], v[82:85]// 00000000C53C: D3B50052 0D4A45B0
	v_mfma_f32_16x16x32_bf16 v[86:89], a[180:183], v[34:37], v[86:89]// 00000000C544: D3B50056 0D5A45B4
	v_mfma_f32_16x16x32_bf16 v[90:93], a[184:187], v[34:37], v[90:93]// 00000000C54C: D3B5005A 0D6A45B8
	ds_read_b64_tr_b16 a[144:145], v12 offset:8192             // 00000000C554: DBC62000 9000000C
	ds_read_b64_tr_b16 a[146:147], v12 offset:8448             // 00000000C55C: DBC62100 9200000C
	ds_read_b64_tr_b16 a[148:149], v13 offset:8192             // 00000000C564: DBC62000 9400000D
	ds_read_b64_tr_b16 a[150:151], v13 offset:8448             // 00000000C56C: DBC62100 9600000D
	v_mfma_f32_16x16x32_bf16 v[94:97], a[188:191], v[34:37], v[94:97]// 00000000C574: D3B5005E 0D7A45BC
	ds_read_b64_tr_b16 a[152:153], v12 offset:9216             // 00000000C57C: DBC62400 9800000C
	ds_read_b64_tr_b16 a[154:155], v12 offset:9472             // 00000000C584: DBC62500 9A00000C
	ds_read_b64_tr_b16 a[156:157], v13 offset:9216             // 00000000C58C: DBC62400 9C00000D
	ds_read_b64_tr_b16 a[158:159], v13 offset:9472             // 00000000C594: DBC62500 9E00000D
	v_mfma_f32_16x16x32_bf16 v[98:101], a[192:195], v[34:37], v[98:101]// 00000000C59C: D3B50062 0D8A45C0
	ds_read_b64_tr_b16 a[160:161], v12 offset:10240            // 00000000C5A4: DBC62800 A000000C
	ds_read_b64_tr_b16 a[162:163], v12 offset:10496            // 00000000C5AC: DBC62900 A200000C
	ds_read_b64_tr_b16 a[164:165], v13 offset:10240            // 00000000C5B4: DBC62800 A400000D
	ds_read_b64_tr_b16 a[166:167], v13 offset:10496            // 00000000C5BC: DBC62900 A600000D
	v_mfma_f32_16x16x32_bf16 v[102:105], a[196:199], v[34:37], v[102:105]// 00000000C5C4: D3B50066 0D9A45C4
	ds_read_b64_tr_b16 a[168:169], v12 offset:11264            // 00000000C5CC: DBC62C00 A800000C
	ds_read_b64_tr_b16 a[170:171], v12 offset:11520            // 00000000C5D4: DBC62D00 AA00000C
	ds_read_b64_tr_b16 a[172:173], v13 offset:11264            // 00000000C5DC: DBC62C00 AC00000D
	ds_read_b64_tr_b16 a[174:175], v13 offset:11520            // 00000000C5E4: DBC62D00 AE00000D
	v_mfma_f32_16x16x32_bf16 v[106:109], a[200:203], v[34:37], v[106:109]// 00000000C5EC: D3B5006A 0DAA45C8
	ds_read_b64_tr_b16 a[176:177], v12 offset:12288            // 00000000C5F4: DBC63000 B000000C
	ds_read_b64_tr_b16 a[178:179], v12 offset:12544            // 00000000C5FC: DBC63100 B200000C
	ds_read_b64_tr_b16 a[180:181], v13 offset:12288            // 00000000C604: DBC63000 B400000D
	ds_read_b64_tr_b16 a[182:183], v13 offset:12544            // 00000000C60C: DBC63100 B600000D
	v_mfma_f32_16x16x32_bf16 v[110:113], a[204:207], v[34:37], v[110:113]// 00000000C614: D3B5006E 0DBA45CC
	ds_read_b64_tr_b16 a[184:185], v12 offset:13312            // 00000000C61C: DBC63400 B800000C
	ds_read_b64_tr_b16 a[186:187], v12 offset:13568            // 00000000C624: DBC63500 BA00000C
	ds_read_b64_tr_b16 a[188:189], v13 offset:13312            // 00000000C62C: DBC63400 BC00000D
	ds_read_b64_tr_b16 a[190:191], v13 offset:13568            // 00000000C634: DBC63500 BE00000D
	ds_read_b64_tr_b16 a[192:193], v12 offset:14336            // 00000000C63C: DBC63800 C000000C
	ds_read_b64_tr_b16 a[194:195], v12 offset:14592            // 00000000C644: DBC63900 C200000C
	ds_read_b64_tr_b16 a[196:197], v13 offset:14336            // 00000000C64C: DBC63800 C400000D
	ds_read_b64_tr_b16 a[198:199], v13 offset:14592            // 00000000C654: DBC63900 C600000D
	ds_read_b64_tr_b16 a[200:201], v12 offset:15360            // 00000000C65C: DBC63C00 C800000C
	ds_read_b64_tr_b16 a[202:203], v12 offset:15616            // 00000000C664: DBC63D00 CA00000C
	ds_read_b64_tr_b16 a[204:205], v13 offset:15360            // 00000000C66C: DBC63C00 CC00000D
	ds_read_b64_tr_b16 a[206:207], v13 offset:15616            // 00000000C674: DBC63D00 CE00000D
	s_waitcnt lgkmcnt(0)                                       // 00000000C67C: BF8CC07F
	v_mfma_f32_16x16x32_bf16 v[114:117], a[144:147], v[34:37], v[114:117]// 00000000C680: D3B50072 0DCA4590
	v_mfma_f32_16x16x32_bf16 v[118:121], a[148:151], v[34:37], v[118:121]// 00000000C688: D3B50076 0DDA4594
	v_mfma_f32_16x16x32_bf16 v[122:125], a[152:155], v[34:37], v[122:125]// 00000000C690: D3B5007A 0DEA4598
	v_mfma_f32_16x16x32_bf16 v[126:129], a[156:159], v[34:37], v[126:129]// 00000000C698: D3B5007E 0DFA459C
	v_mfma_f32_16x16x32_bf16 v[130:133], a[160:163], v[34:37], v[130:133]// 00000000C6A0: D3B50082 0E0A45A0
	v_mfma_f32_16x16x32_bf16 v[134:137], a[164:167], v[34:37], v[134:137]// 00000000C6A8: D3B50086 0E1A45A4
	v_mfma_f32_16x16x32_bf16 v[138:141], a[168:171], v[34:37], v[138:141]// 00000000C6B0: D3B5008A 0E2A45A8
	v_mfma_f32_16x16x32_bf16 v[142:145], a[172:175], v[34:37], v[142:145]// 00000000C6B8: D3B5008E 0E3A45AC
	v_mfma_f32_16x16x32_bf16 v[146:149], a[176:179], v[34:37], v[146:149]// 00000000C6C0: D3B50092 0E4A45B0
	v_mfma_f32_16x16x32_bf16 v[150:153], a[180:183], v[34:37], v[150:153]// 00000000C6C8: D3B50096 0E5A45B4
	v_mfma_f32_16x16x32_bf16 v[154:157], a[184:187], v[34:37], v[154:157]// 00000000C6D0: D3B5009A 0E6A45B8
	v_mfma_f32_16x16x32_bf16 v[158:161], a[188:191], v[34:37], v[158:161]// 00000000C6D8: D3B5009E 0E7A45BC
	v_mfma_f32_16x16x32_bf16 v[162:165], a[192:195], v[34:37], v[162:165]// 00000000C6E0: D3B500A2 0E8A45C0
	v_mfma_f32_16x16x32_bf16 v[166:169], a[196:199], v[34:37], v[166:169]// 00000000C6E8: D3B500A6 0E9A45C4
	v_mfma_f32_16x16x32_bf16 v[170:173], a[200:203], v[34:37], v[170:173]// 00000000C6F0: D3B500AA 0EAA45C8
	v_mfma_f32_16x16x32_bf16 v[174:177], a[204:207], v[34:37], v[174:177]// 00000000C6F8: D3B500AE 0EBA45CC
	s_nop 8                                                    // 00000000C700: BF800008
	s_branch label_AD18                                        // 00000000C704: BF820242

000000000000c708 <label_A208>:
	s_waitcnt lgkmcnt(0)                                       // 00000000C708: BF8CC07F
	v_mfma_f32_16x16x32_bf16 v[42:45], a[72:75], a[0:3], 0     // 00000000C70C: D3B5002A 1A020148
	v_mfma_f32_16x16x32_bf16 v[42:45], a[76:79], a[4:7], v[42:45]// 00000000C714: D3B5002A 1CAA094C
	v_mfma_f32_16x16x32_bf16 v[42:45], a[80:83], a[8:11], v[42:45]// 00000000C71C: D3B5002A 1CAA1150
	v_mfma_f32_16x16x32_bf16 v[42:45], a[84:87], a[12:15], v[42:45]// 00000000C724: D3B5002A 1CAA1954
	v_mfma_f32_16x16x32_bf16 v[42:45], a[88:91], a[16:19], v[42:45]// 00000000C72C: D3B5002A 1CAA2158
	v_mfma_f32_16x16x32_bf16 v[42:45], a[92:95], a[20:23], v[42:45]// 00000000C734: D3B5002A 1CAA295C
	v_mfma_f32_16x16x32_bf16 v[42:45], a[96:99], a[24:27], v[42:45]// 00000000C73C: D3B5002A 1CAA3160
	v_mfma_f32_16x16x32_bf16 v[42:45], a[100:103], a[28:31], v[42:45]// 00000000C744: D3B5002A 1CAA3964
	ds_read_b128 a[72:75], v21 offset:18432                    // 00000000C74C: DBFE4800 48000015
	ds_read_b128 a[76:79], v21 offset:19456                    // 00000000C754: DBFE4C00 4C000015
	v_mfma_f32_16x16x32_bf16 v[42:45], a[104:107], a[32:35], v[42:45]// 00000000C75C: D3B5002A 1CAA4168
	v_mfma_f32_16x16x32_bf16 v[42:45], a[108:111], a[36:39], v[42:45]// 00000000C764: D3B5002A 1CAA496C
	ds_read_b128 a[80:83], v21 offset:20480                    // 00000000C76C: DBFE5000 50000015
	ds_read_b128 a[84:87], v21 offset:21504                    // 00000000C774: DBFE5400 54000015
	v_mfma_f32_16x16x32_bf16 v[42:45], a[112:115], a[40:43], v[42:45]// 00000000C77C: D3B5002A 1CAA5170
	v_mfma_f32_16x16x32_bf16 v[42:45], a[116:119], a[44:47], v[42:45]// 00000000C784: D3B5002A 1CAA5974
	ds_read_b128 a[88:91], v21 offset:22528                    // 00000000C78C: DBFE5800 58000015
	ds_read_b128 a[92:95], v21 offset:23552                    // 00000000C794: DBFE5C00 5C000015
	v_mfma_f32_16x16x32_bf16 v[42:45], a[120:123], a[48:51], v[42:45]// 00000000C79C: D3B5002A 1CAA6178
	v_mfma_f32_16x16x32_bf16 v[42:45], a[124:127], a[52:55], v[42:45]// 00000000C7A4: D3B5002A 1CAA697C
	ds_read_b128 a[96:99], v21 offset:24576                    // 00000000C7AC: DBFE6000 60000015
	ds_read_b128 a[100:103], v21 offset:25600                  // 00000000C7B4: DBFE6400 64000015
	v_mfma_f32_16x16x32_bf16 v[42:45], a[128:131], a[56:59], v[42:45]// 00000000C7BC: D3B5002A 1CAA7180
	v_mfma_f32_16x16x32_bf16 v[42:45], a[132:135], a[60:63], v[42:45]// 00000000C7C4: D3B5002A 1CAA7984
	ds_read_b128 a[104:107], v21 offset:26624                  // 00000000C7CC: DBFE6800 68000015
	ds_read_b128 a[108:111], v21 offset:27648                  // 00000000C7D4: DBFE6C00 6C000015
	v_mfma_f32_16x16x32_bf16 v[42:45], a[136:139], a[64:67], v[42:45]// 00000000C7DC: D3B5002A 1CAA8188
	v_mfma_f32_16x16x32_bf16 v[42:45], a[140:143], a[68:71], v[42:45]// 00000000C7E4: D3B5002A 1CAA898C
	ds_read_b128 a[112:115], v21 offset:28672                  // 00000000C7EC: DBFE7000 70000015
	ds_read_b128 a[116:119], v21 offset:29696                  // 00000000C7F4: DBFE7400 74000015
	ds_read_b128 a[120:123], v21 offset:30720                  // 00000000C7FC: DBFE7800 78000015
	ds_read_b128 a[124:127], v21 offset:31744                  // 00000000C804: DBFE7C00 7C000015
	ds_read_b128 a[128:131], v21 offset:32768                  // 00000000C80C: DBFE8000 80000015
	ds_read_b128 a[132:135], v21 offset:33792                  // 00000000C814: DBFE8400 84000015
	ds_read_b128 a[136:139], v21 offset:34816                  // 00000000C81C: DBFE8800 88000015
	ds_read_b128 a[140:143], v21 offset:35840                  // 00000000C824: DBFE8C00 8C000015
	s_waitcnt lgkmcnt(0)                                       // 00000000C82C: BF8CC07F
	v_mfma_f32_16x16x32_bf16 v[46:49], a[72:75], a[0:3], 0     // 00000000C830: D3B5002E 1A020148
	ds_read_b64_tr_b16 a[144:145], v14                         // 00000000C838: DBC60000 9000000E
	ds_read_b64_tr_b16 a[146:147], v14 offset:256              // 00000000C840: DBC60100 9200000E
	ds_read_b64_tr_b16 a[148:149], v15                         // 00000000C848: DBC60000 9400000F
	ds_read_b64_tr_b16 a[150:151], v15 offset:256              // 00000000C850: DBC60100 9600000F
	v_mfma_f32_16x16x32_bf16 v[46:49], a[76:79], a[4:7], v[46:49]// 00000000C858: D3B5002E 1CBA094C
	ds_read_b64_tr_b16 a[152:153], v14 offset:1024             // 00000000C860: DBC60400 9800000E
	ds_read_b64_tr_b16 a[154:155], v14 offset:1280             // 00000000C868: DBC60500 9A00000E
	ds_read_b64_tr_b16 a[156:157], v15 offset:1024             // 00000000C870: DBC60400 9C00000F
	ds_read_b64_tr_b16 a[158:159], v15 offset:1280             // 00000000C878: DBC60500 9E00000F
	v_mfma_f32_16x16x32_bf16 v[46:49], a[80:83], a[8:11], v[46:49]// 00000000C880: D3B5002E 1CBA1150
	ds_read_b64_tr_b16 a[160:161], v14 offset:2048             // 00000000C888: DBC60800 A000000E
	ds_read_b64_tr_b16 a[162:163], v14 offset:2304             // 00000000C890: DBC60900 A200000E
	ds_read_b64_tr_b16 a[164:165], v15 offset:2048             // 00000000C898: DBC60800 A400000F
	ds_read_b64_tr_b16 a[166:167], v15 offset:2304             // 00000000C8A0: DBC60900 A600000F
	v_mfma_f32_16x16x32_bf16 v[46:49], a[84:87], a[12:15], v[46:49]// 00000000C8A8: D3B5002E 1CBA1954
	ds_read_b64_tr_b16 a[168:169], v14 offset:3072             // 00000000C8B0: DBC60C00 A800000E
	ds_read_b64_tr_b16 a[170:171], v14 offset:3328             // 00000000C8B8: DBC60D00 AA00000E
	ds_read_b64_tr_b16 a[172:173], v15 offset:3072             // 00000000C8C0: DBC60C00 AC00000F
	ds_read_b64_tr_b16 a[174:175], v15 offset:3328             // 00000000C8C8: DBC60D00 AE00000F
	v_mfma_f32_16x16x32_bf16 v[46:49], a[88:91], a[16:19], v[46:49]// 00000000C8D0: D3B5002E 1CBA2158
	ds_read_b64_tr_b16 a[176:177], v14 offset:4096             // 00000000C8D8: DBC61000 B000000E
	ds_read_b64_tr_b16 a[178:179], v14 offset:4352             // 00000000C8E0: DBC61100 B200000E
	ds_read_b64_tr_b16 a[180:181], v15 offset:4096             // 00000000C8E8: DBC61000 B400000F
	ds_read_b64_tr_b16 a[182:183], v15 offset:4352             // 00000000C8F0: DBC61100 B600000F
	v_mfma_f32_16x16x32_bf16 v[46:49], a[92:95], a[20:23], v[46:49]// 00000000C8F8: D3B5002E 1CBA295C
	ds_read_b64_tr_b16 a[184:185], v14 offset:5120             // 00000000C900: DBC61400 B800000E
	ds_read_b64_tr_b16 a[186:187], v14 offset:5376             // 00000000C908: DBC61500 BA00000E
	ds_read_b64_tr_b16 a[188:189], v15 offset:5120             // 00000000C910: DBC61400 BC00000F
	ds_read_b64_tr_b16 a[190:191], v15 offset:5376             // 00000000C918: DBC61500 BE00000F
	v_mfma_f32_16x16x32_bf16 v[46:49], a[96:99], a[24:27], v[46:49]// 00000000C920: D3B5002E 1CBA3160
	ds_read_b64_tr_b16 a[192:193], v14 offset:6144             // 00000000C928: DBC61800 C000000E
	ds_read_b64_tr_b16 a[194:195], v14 offset:6400             // 00000000C930: DBC61900 C200000E
	ds_read_b64_tr_b16 a[196:197], v15 offset:6144             // 00000000C938: DBC61800 C400000F
	ds_read_b64_tr_b16 a[198:199], v15 offset:6400             // 00000000C940: DBC61900 C600000F
	v_mfma_f32_16x16x32_bf16 v[46:49], a[100:103], a[28:31], v[46:49]// 00000000C948: D3B5002E 1CBA3964
	ds_read_b64_tr_b16 a[200:201], v14 offset:7168             // 00000000C950: DBC61C00 C800000E
	ds_read_b64_tr_b16 a[202:203], v14 offset:7424             // 00000000C958: DBC61D00 CA00000E
	ds_read_b64_tr_b16 a[204:205], v15 offset:7168             // 00000000C960: DBC61C00 CC00000F
	ds_read_b64_tr_b16 a[206:207], v15 offset:7424             // 00000000C968: DBC61D00 CE00000F
	v_mfma_f32_16x16x32_bf16 v[46:49], a[104:107], a[32:35], v[46:49]// 00000000C970: D3B5002E 1CBA4168
	v_mfma_f32_16x16x32_bf16 v[46:49], a[108:111], a[36:39], v[46:49]// 00000000C978: D3B5002E 1CBA496C
	v_mfma_f32_16x16x32_bf16 v[46:49], a[112:115], a[40:43], v[46:49]// 00000000C980: D3B5002E 1CBA5170
	v_mfma_f32_16x16x32_bf16 v[46:49], a[116:119], a[44:47], v[46:49]// 00000000C988: D3B5002E 1CBA5974
	v_mfma_f32_16x16x32_bf16 v[46:49], a[120:123], a[48:51], v[46:49]// 00000000C990: D3B5002E 1CBA6178
	v_mfma_f32_16x16x32_bf16 v[46:49], a[124:127], a[52:55], v[46:49]// 00000000C998: D3B5002E 1CBA697C
	v_mfma_f32_16x16x32_bf16 v[46:49], a[128:131], a[56:59], v[46:49]// 00000000C9A0: D3B5002E 1CBA7180
	v_mfma_f32_16x16x32_bf16 v[46:49], a[132:135], a[60:63], v[46:49]// 00000000C9A8: D3B5002E 1CBA7984
	v_mfma_f32_16x16x32_bf16 v[46:49], a[136:139], a[64:67], v[46:49]// 00000000C9B0: D3B5002E 1CBA8188
	v_mfma_f32_16x16x32_bf16 v[46:49], a[140:143], a[68:71], v[46:49]// 00000000C9B8: D3B5002E 1CBA898C
	s_nop 8                                                    // 00000000C9C0: BF800008
	s_and_b32 s56, s48, 0xff                                   // 00000000C9C4: 8638FF30 000000FF
	v_mov_b32_e32 v29, s56                                     // 00000000C9CC: 7E3A0238
	v_lshrrev_b32_e32 v18, 4, v0                               // 00000000C9D0: 20240084
	v_mul_i32_i24_e32 v18, 4, v18                              // 00000000C9D4: 0C242484
	v_add_u32_e32 v19, 1, v18                                  // 00000000C9D8: 68262481
	v_add_u32_e32 v20, 2, v18                                  // 00000000C9DC: 68282482
	v_add_u32_e32 v21, 3, v18                                  // 00000000C9E0: 682A2483
	v_mov_b32_e32 v28, 0xff800000                              // 00000000C9E4: 7E3802FF FF800000
	v_cmp_lt_u32_e64 s[36:37], v18, v29                        // 00000000C9EC: D0C90024 00023B12
	v_add_u32_e32 v18, 16, v18                                 // 00000000C9F4: 68242490
	s_nop 0                                                    // 00000000C9F8: BF800000
	v_cndmask_b32_e64 v42, v28, v42, s[36:37]                  // 00000000C9FC: D100002A 0092551C
	v_cmp_lt_u32_e64 s[36:37], v19, v29                        // 00000000CA04: D0C90024 00023B13
	v_add_u32_e32 v19, 16, v19                                 // 00000000CA0C: 68262690
	s_nop 0                                                    // 00000000CA10: BF800000
	v_cndmask_b32_e64 v43, v28, v43, s[36:37]                  // 00000000CA14: D100002B 0092571C
	v_cmp_lt_u32_e64 s[36:37], v20, v29                        // 00000000CA1C: D0C90024 00023B14
	v_add_u32_e32 v20, 16, v20                                 // 00000000CA24: 68282890
	s_nop 0                                                    // 00000000CA28: BF800000
	v_cndmask_b32_e64 v44, v28, v44, s[36:37]                  // 00000000CA2C: D100002C 0092591C
	v_cmp_lt_u32_e64 s[36:37], v21, v29                        // 00000000CA34: D0C90024 00023B15
	v_add_u32_e32 v21, 16, v21                                 // 00000000CA3C: 682A2A90
	s_nop 0                                                    // 00000000CA40: BF800000
	v_cndmask_b32_e64 v45, v28, v45, s[36:37]                  // 00000000CA44: D100002D 00925B1C
	v_cmp_lt_u32_e64 s[36:37], v18, v29                        // 00000000CA4C: D0C90024 00023B12
	v_add_u32_e32 v18, 16, v18                                 // 00000000CA54: 68242490
	s_nop 0                                                    // 00000000CA58: BF800000
	v_cndmask_b32_e64 v46, v28, v46, s[36:37]                  // 00000000CA5C: D100002E 00925D1C
	v_cmp_lt_u32_e64 s[36:37], v19, v29                        // 00000000CA64: D0C90024 00023B13
	v_add_u32_e32 v19, 16, v19                                 // 00000000CA6C: 68262690
	s_nop 0                                                    // 00000000CA70: BF800000
	v_cndmask_b32_e64 v47, v28, v47, s[36:37]                  // 00000000CA74: D100002F 00925F1C
	v_cmp_lt_u32_e64 s[36:37], v20, v29                        // 00000000CA7C: D0C90024 00023B14
	v_add_u32_e32 v20, 16, v20                                 // 00000000CA84: 68282890
	s_nop 0                                                    // 00000000CA88: BF800000
	v_cndmask_b32_e64 v48, v28, v48, s[36:37]                  // 00000000CA8C: D1000030 0092611C
	v_cmp_lt_u32_e64 s[36:37], v21, v29                        // 00000000CA94: D0C90024 00023B15
	v_add_u32_e32 v21, 16, v21                                 // 00000000CA9C: 682A2A90
	s_nop 0                                                    // 00000000CAA0: BF800000
	v_cndmask_b32_e64 v49, v28, v49, s[36:37]                  // 00000000CAA4: D1000031 0092631C
	s_nop 2                                                    // 00000000CAAC: BF800002
	v_mov_b32_e32 v29, v42                                     // 00000000CAB0: 7E3A032A
	v_max3_f32 v29, v42, v43, v29                              // 00000000CAB4: D1D3001D 0476572A
	v_max3_f32 v29, v44, v45, v29                              // 00000000CABC: D1D3001D 04765B2C
	v_max3_f32 v29, v46, v47, v29                              // 00000000CAC4: D1D3001D 04765F2E
	v_max3_f32 v29, v48, v49, v29                              // 00000000CACC: D1D3001D 04766330
	v_mov_b32_e32 v28, v29                                     // 00000000CAD4: 7E38031D
	v_mov_b32_e32 v29, v29                                     // 00000000CAD8: 7E3A031D
	s_nop 1                                                    // 00000000CADC: BF800001
	v_permlane16_swap_b32_e32 v28, v29                         // 00000000CAE0: 7E38B31D
	v_mov_b32_e32 v31, v28                                     // 00000000CAE4: 7E3E031C
	v_mov_b32_e32 v30, v29                                     // 00000000CAE8: 7E3C031D
	s_nop 1                                                    // 00000000CAEC: BF800001
	v_permlane32_swap_b32_e32 v28, v29                         // 00000000CAF0: 7E38B51D
	v_permlane32_swap_b32_e32 v30, v31                         // 00000000CAF4: 7E3CB51F
	v_max3_f32 v29, v28, v29, v29                              // 00000000CAF8: D1D3001D 04763B1C
	v_max3_f32 v29, v30, v31, v29                              // 00000000CB00: D1D3001D 04763F1E
	v_mov_b32_e32 v28, 0xff800000                              // 00000000CB08: 7E3802FF FF800000
	v_cmp_eq_u32_e64 s[36:37], v28, v2                         // 00000000CB10: D0CA0024 0002051C
	v_max_f32_e32 v29, v29, v2                                 // 00000000CB18: 163A051D
	v_sub_f32_e32 v16, v2, v29                                 // 00000000CB1C: 04203B02
	v_cndmask_b32_e64 v16, v16, 0, s[36:37]                    // 00000000CB20: D1000010 00910110
	v_mov_b32_e32 v2, v29                                      // 00000000CB28: 7E04031D
	v_mul_f32_e32 v29, s5, v29                                 // 00000000CB2C: 0A3A3A05
	v_mul_f32_e32 v16, s5, v16                                 // 00000000CB30: 0A202005
	v_exp_f32_e32 v16, v16                                     // 00000000CB34: 7E204110
	v_fma_f32 v42, v42, s5, -v29                               // 00000000CB38: D1CB002A 84740B2A
	v_fma_f32 v43, v43, s5, -v29                               // 00000000CB40: D1CB002B 84740B2B
	v_fma_f32 v44, v44, s5, -v29                               // 00000000CB48: D1CB002C 84740B2C
	v_fma_f32 v45, v45, s5, -v29                               // 00000000CB50: D1CB002D 84740B2D
	v_fma_f32 v46, v46, s5, -v29                               // 00000000CB58: D1CB002E 84740B2E
	v_fma_f32 v47, v47, s5, -v29                               // 00000000CB60: D1CB002F 84740B2F
	v_fma_f32 v48, v48, s5, -v29                               // 00000000CB68: D1CB0030 84740B30
	v_fma_f32 v49, v49, s5, -v29                               // 00000000CB70: D1CB0031 84740B31
	v_exp_f32_e32 v42, v42                                     // 00000000CB78: 7E54412A
	v_exp_f32_e32 v43, v43                                     // 00000000CB7C: 7E56412B
	v_exp_f32_e32 v44, v44                                     // 00000000CB80: 7E58412C
	v_exp_f32_e32 v45, v45                                     // 00000000CB84: 7E5A412D
	v_exp_f32_e32 v46, v46                                     // 00000000CB88: 7E5C412E
	v_exp_f32_e32 v47, v47                                     // 00000000CB8C: 7E5E412F
	v_exp_f32_e32 v48, v48                                     // 00000000CB90: 7E604130
	v_exp_f32_e32 v49, v49                                     // 00000000CB94: 7E624131
	v_mul_f32_e32 v4, v16, v4                                  // 00000000CB98: 0A080910
	v_mov_b32_e32 v28, v42                                     // 00000000CB9C: 7E38032A
	v_add_f32_e32 v28, v43, v28                                // 00000000CBA0: 0238392B
	v_add_f32_e32 v28, v44, v28                                // 00000000CBA4: 0238392C
	v_add_f32_e32 v28, v45, v28                                // 00000000CBA8: 0238392D
	v_add_f32_e32 v28, v46, v28                                // 00000000CBAC: 0238392E
	v_add_f32_e32 v28, v47, v28                                // 00000000CBB0: 0238392F
	v_add_f32_e32 v28, v48, v28                                // 00000000CBB4: 02383930
	v_add_f32_e32 v28, v49, v28                                // 00000000CBB8: 02383931
	v_add_f32_e32 v4, v28, v4                                  // 00000000CBBC: 0208091C
	v_cvt_pk_bf16_f32 v42, v42, v43                            // 00000000CBC0: D268002A 0002572A
	v_cvt_pk_bf16_f32 v43, v44, v45                            // 00000000CBC8: D268002B 00025B2C
	v_cvt_pk_bf16_f32 v44, v46, v47                            // 00000000CBD0: D268002C 00025F2E
	v_cvt_pk_bf16_f32 v45, v48, v49                            // 00000000CBD8: D268002D 00026330
	s_nop 0                                                    // 00000000CBE0: BF800000
	v_permlane32_swap_b32_e32 v42, v44                         // 00000000CBE4: 7E54B52C
	v_permlane32_swap_b32_e32 v43, v45                         // 00000000CBE8: 7E56B52D
	s_nop 0                                                    // 00000000CBEC: BF800000
	v_permlane16_swap_b32_e32 v42, v44                         // 00000000CBF0: 7E54B32C
	v_permlane16_swap_b32_e32 v43, v45                         // 00000000CBF4: 7E56B32D
	v_mov_b32_e32 v30, v16                                     // 00000000CBF8: 7E3C0310
	v_mov_b32_e32 v31, v16                                     // 00000000CBFC: 7E3E0310
	v_pk_mul_f32 v[50:51], v[30:31], v[50:51]                  // 00000000CC00: D3B14032 1802651E
	v_pk_mul_f32 v[52:53], v[30:31], v[52:53]                  // 00000000CC08: D3B14034 1802691E
	v_pk_mul_f32 v[54:55], v[30:31], v[54:55]                  // 00000000CC10: D3B14036 18026D1E
	v_pk_mul_f32 v[56:57], v[30:31], v[56:57]                  // 00000000CC18: D3B14038 1802711E
	v_pk_mul_f32 v[58:59], v[30:31], v[58:59]                  // 00000000CC20: D3B1403A 1802751E
	v_pk_mul_f32 v[60:61], v[30:31], v[60:61]                  // 00000000CC28: D3B1403C 1802791E
	v_pk_mul_f32 v[62:63], v[30:31], v[62:63]                  // 00000000CC30: D3B1403E 18027D1E
	v_pk_mul_f32 v[64:65], v[30:31], v[64:65]                  // 00000000CC38: D3B14040 1802811E
	v_pk_mul_f32 v[66:67], v[30:31], v[66:67]                  // 00000000CC40: D3B14042 1802851E
	v_pk_mul_f32 v[68:69], v[30:31], v[68:69]                  // 00000000CC48: D3B14044 1802891E
	v_pk_mul_f32 v[70:71], v[30:31], v[70:71]                  // 00000000CC50: D3B14046 18028D1E
	v_pk_mul_f32 v[72:73], v[30:31], v[72:73]                  // 00000000CC58: D3B14048 1802911E
	v_pk_mul_f32 v[74:75], v[30:31], v[74:75]                  // 00000000CC60: D3B1404A 1802951E
	v_pk_mul_f32 v[76:77], v[30:31], v[76:77]                  // 00000000CC68: D3B1404C 1802991E
	v_pk_mul_f32 v[78:79], v[30:31], v[78:79]                  // 00000000CC70: D3B1404E 18029D1E
	v_pk_mul_f32 v[80:81], v[30:31], v[80:81]                  // 00000000CC78: D3B14050 1802A11E
	v_pk_mul_f32 v[82:83], v[30:31], v[82:83]                  // 00000000CC80: D3B14052 1802A51E
	v_pk_mul_f32 v[84:85], v[30:31], v[84:85]                  // 00000000CC88: D3B14054 1802A91E
	v_pk_mul_f32 v[86:87], v[30:31], v[86:87]                  // 00000000CC90: D3B14056 1802AD1E
	v_pk_mul_f32 v[88:89], v[30:31], v[88:89]                  // 00000000CC98: D3B14058 1802B11E
	v_pk_mul_f32 v[90:91], v[30:31], v[90:91]                  // 00000000CCA0: D3B1405A 1802B51E
	v_pk_mul_f32 v[92:93], v[30:31], v[92:93]                  // 00000000CCA8: D3B1405C 1802B91E
	v_pk_mul_f32 v[94:95], v[30:31], v[94:95]                  // 00000000CCB0: D3B1405E 1802BD1E
	v_pk_mul_f32 v[96:97], v[30:31], v[96:97]                  // 00000000CCB8: D3B14060 1802C11E
	v_pk_mul_f32 v[98:99], v[30:31], v[98:99]                  // 00000000CCC0: D3B14062 1802C51E
	v_pk_mul_f32 v[100:101], v[30:31], v[100:101]              // 00000000CCC8: D3B14064 1802C91E
	v_pk_mul_f32 v[102:103], v[30:31], v[102:103]              // 00000000CCD0: D3B14066 1802CD1E
	v_pk_mul_f32 v[104:105], v[30:31], v[104:105]              // 00000000CCD8: D3B14068 1802D11E
	v_pk_mul_f32 v[106:107], v[30:31], v[106:107]              // 00000000CCE0: D3B1406A 1802D51E
	v_pk_mul_f32 v[108:109], v[30:31], v[108:109]              // 00000000CCE8: D3B1406C 1802D91E
	v_pk_mul_f32 v[110:111], v[30:31], v[110:111]              // 00000000CCF0: D3B1406E 1802DD1E
	v_pk_mul_f32 v[112:113], v[30:31], v[112:113]              // 00000000CCF8: D3B14070 1802E11E
	v_pk_mul_f32 v[114:115], v[30:31], v[114:115]              // 00000000CD00: D3B14072 1802E51E
	v_pk_mul_f32 v[116:117], v[30:31], v[116:117]              // 00000000CD08: D3B14074 1802E91E
	v_pk_mul_f32 v[118:119], v[30:31], v[118:119]              // 00000000CD10: D3B14076 1802ED1E
	v_pk_mul_f32 v[120:121], v[30:31], v[120:121]              // 00000000CD18: D3B14078 1802F11E
	v_pk_mul_f32 v[122:123], v[30:31], v[122:123]              // 00000000CD20: D3B1407A 1802F51E
	v_pk_mul_f32 v[124:125], v[30:31], v[124:125]              // 00000000CD28: D3B1407C 1802F91E
	v_pk_mul_f32 v[126:127], v[30:31], v[126:127]              // 00000000CD30: D3B1407E 1802FD1E
	v_pk_mul_f32 v[128:129], v[30:31], v[128:129]              // 00000000CD38: D3B14080 1803011E
	v_pk_mul_f32 v[130:131], v[30:31], v[130:131]              // 00000000CD40: D3B14082 1803051E
	v_pk_mul_f32 v[132:133], v[30:31], v[132:133]              // 00000000CD48: D3B14084 1803091E
	v_pk_mul_f32 v[134:135], v[30:31], v[134:135]              // 00000000CD50: D3B14086 18030D1E
	v_pk_mul_f32 v[136:137], v[30:31], v[136:137]              // 00000000CD58: D3B14088 1803111E
	v_pk_mul_f32 v[138:139], v[30:31], v[138:139]              // 00000000CD60: D3B1408A 1803151E
	v_pk_mul_f32 v[140:141], v[30:31], v[140:141]              // 00000000CD68: D3B1408C 1803191E
	v_pk_mul_f32 v[142:143], v[30:31], v[142:143]              // 00000000CD70: D3B1408E 18031D1E
	v_pk_mul_f32 v[144:145], v[30:31], v[144:145]              // 00000000CD78: D3B14090 1803211E
	v_pk_mul_f32 v[146:147], v[30:31], v[146:147]              // 00000000CD80: D3B14092 1803251E
	v_pk_mul_f32 v[148:149], v[30:31], v[148:149]              // 00000000CD88: D3B14094 1803291E
	v_pk_mul_f32 v[150:151], v[30:31], v[150:151]              // 00000000CD90: D3B14096 18032D1E
	v_pk_mul_f32 v[152:153], v[30:31], v[152:153]              // 00000000CD98: D3B14098 1803311E
	v_pk_mul_f32 v[154:155], v[30:31], v[154:155]              // 00000000CDA0: D3B1409A 1803351E
	v_pk_mul_f32 v[156:157], v[30:31], v[156:157]              // 00000000CDA8: D3B1409C 1803391E
	v_pk_mul_f32 v[158:159], v[30:31], v[158:159]              // 00000000CDB0: D3B1409E 18033D1E
	v_pk_mul_f32 v[160:161], v[30:31], v[160:161]              // 00000000CDB8: D3B140A0 1803411E
	v_pk_mul_f32 v[162:163], v[30:31], v[162:163]              // 00000000CDC0: D3B140A2 1803451E
	v_pk_mul_f32 v[164:165], v[30:31], v[164:165]              // 00000000CDC8: D3B140A4 1803491E
	v_pk_mul_f32 v[166:167], v[30:31], v[166:167]              // 00000000CDD0: D3B140A6 18034D1E
	v_pk_mul_f32 v[168:169], v[30:31], v[168:169]              // 00000000CDD8: D3B140A8 1803511E
	v_pk_mul_f32 v[170:171], v[30:31], v[170:171]              // 00000000CDE0: D3B140AA 1803551E
	v_pk_mul_f32 v[172:173], v[30:31], v[172:173]              // 00000000CDE8: D3B140AC 1803591E
	v_pk_mul_f32 v[174:175], v[30:31], v[174:175]              // 00000000CDF0: D3B140AE 18035D1E
	v_pk_mul_f32 v[176:177], v[30:31], v[176:177]              // 00000000CDF8: D3B140B0 1803611E
	s_waitcnt lgkmcnt(0)                                       // 00000000CE00: BF8CC07F
	v_mfma_f32_16x16x32_bf16 v[50:53], a[144:147], v[42:45], v[50:53]// 00000000CE04: D3B50032 0CCA5590
	v_mfma_f32_16x16x32_bf16 v[54:57], a[148:151], v[42:45], v[54:57]// 00000000CE0C: D3B50036 0CDA5594
	v_mfma_f32_16x16x32_bf16 v[58:61], a[152:155], v[42:45], v[58:61]// 00000000CE14: D3B5003A 0CEA5598
	v_mfma_f32_16x16x32_bf16 v[62:65], a[156:159], v[42:45], v[62:65]// 00000000CE1C: D3B5003E 0CFA559C
	v_mfma_f32_16x16x32_bf16 v[66:69], a[160:163], v[42:45], v[66:69]// 00000000CE24: D3B50042 0D0A55A0
	v_mfma_f32_16x16x32_bf16 v[70:73], a[164:167], v[42:45], v[70:73]// 00000000CE2C: D3B50046 0D1A55A4
	v_mfma_f32_16x16x32_bf16 v[74:77], a[168:171], v[42:45], v[74:77]// 00000000CE34: D3B5004A 0D2A55A8
	v_mfma_f32_16x16x32_bf16 v[78:81], a[172:175], v[42:45], v[78:81]// 00000000CE3C: D3B5004E 0D3A55AC
	v_mfma_f32_16x16x32_bf16 v[82:85], a[176:179], v[42:45], v[82:85]// 00000000CE44: D3B50052 0D4A55B0
	v_mfma_f32_16x16x32_bf16 v[86:89], a[180:183], v[42:45], v[86:89]// 00000000CE4C: D3B50056 0D5A55B4
	v_mfma_f32_16x16x32_bf16 v[90:93], a[184:187], v[42:45], v[90:93]// 00000000CE54: D3B5005A 0D6A55B8
	ds_read_b64_tr_b16 a[144:145], v14 offset:8192             // 00000000CE5C: DBC62000 9000000E
	ds_read_b64_tr_b16 a[146:147], v14 offset:8448             // 00000000CE64: DBC62100 9200000E
	ds_read_b64_tr_b16 a[148:149], v15 offset:8192             // 00000000CE6C: DBC62000 9400000F
	ds_read_b64_tr_b16 a[150:151], v15 offset:8448             // 00000000CE74: DBC62100 9600000F
	v_mfma_f32_16x16x32_bf16 v[94:97], a[188:191], v[42:45], v[94:97]// 00000000CE7C: D3B5005E 0D7A55BC
	ds_read_b64_tr_b16 a[152:153], v14 offset:9216             // 00000000CE84: DBC62400 9800000E
	ds_read_b64_tr_b16 a[154:155], v14 offset:9472             // 00000000CE8C: DBC62500 9A00000E
	ds_read_b64_tr_b16 a[156:157], v15 offset:9216             // 00000000CE94: DBC62400 9C00000F
	ds_read_b64_tr_b16 a[158:159], v15 offset:9472             // 00000000CE9C: DBC62500 9E00000F
	v_mfma_f32_16x16x32_bf16 v[98:101], a[192:195], v[42:45], v[98:101]// 00000000CEA4: D3B50062 0D8A55C0
	ds_read_b64_tr_b16 a[160:161], v14 offset:10240            // 00000000CEAC: DBC62800 A000000E
	ds_read_b64_tr_b16 a[162:163], v14 offset:10496            // 00000000CEB4: DBC62900 A200000E
	ds_read_b64_tr_b16 a[164:165], v15 offset:10240            // 00000000CEBC: DBC62800 A400000F
	ds_read_b64_tr_b16 a[166:167], v15 offset:10496            // 00000000CEC4: DBC62900 A600000F
	v_mfma_f32_16x16x32_bf16 v[102:105], a[196:199], v[42:45], v[102:105]// 00000000CECC: D3B50066 0D9A55C4
	ds_read_b64_tr_b16 a[168:169], v14 offset:11264            // 00000000CED4: DBC62C00 A800000E
	ds_read_b64_tr_b16 a[170:171], v14 offset:11520            // 00000000CEDC: DBC62D00 AA00000E
	ds_read_b64_tr_b16 a[172:173], v15 offset:11264            // 00000000CEE4: DBC62C00 AC00000F
	ds_read_b64_tr_b16 a[174:175], v15 offset:11520            // 00000000CEEC: DBC62D00 AE00000F
	v_mfma_f32_16x16x32_bf16 v[106:109], a[200:203], v[42:45], v[106:109]// 00000000CEF4: D3B5006A 0DAA55C8
	ds_read_b64_tr_b16 a[176:177], v14 offset:12288            // 00000000CEFC: DBC63000 B000000E
	ds_read_b64_tr_b16 a[178:179], v14 offset:12544            // 00000000CF04: DBC63100 B200000E
	ds_read_b64_tr_b16 a[180:181], v15 offset:12288            // 00000000CF0C: DBC63000 B400000F
	ds_read_b64_tr_b16 a[182:183], v15 offset:12544            // 00000000CF14: DBC63100 B600000F
	v_mfma_f32_16x16x32_bf16 v[110:113], a[204:207], v[42:45], v[110:113]// 00000000CF1C: D3B5006E 0DBA55CC
	ds_read_b64_tr_b16 a[184:185], v14 offset:13312            // 00000000CF24: DBC63400 B800000E
	ds_read_b64_tr_b16 a[186:187], v14 offset:13568            // 00000000CF2C: DBC63500 BA00000E
	ds_read_b64_tr_b16 a[188:189], v15 offset:13312            // 00000000CF34: DBC63400 BC00000F
	ds_read_b64_tr_b16 a[190:191], v15 offset:13568            // 00000000CF3C: DBC63500 BE00000F
	ds_read_b64_tr_b16 a[192:193], v14 offset:14336            // 00000000CF44: DBC63800 C000000E
	ds_read_b64_tr_b16 a[194:195], v14 offset:14592            // 00000000CF4C: DBC63900 C200000E
	ds_read_b64_tr_b16 a[196:197], v15 offset:14336            // 00000000CF54: DBC63800 C400000F
	ds_read_b64_tr_b16 a[198:199], v15 offset:14592            // 00000000CF5C: DBC63900 C600000F
	ds_read_b64_tr_b16 a[200:201], v14 offset:15360            // 00000000CF64: DBC63C00 C800000E
	ds_read_b64_tr_b16 a[202:203], v14 offset:15616            // 00000000CF6C: DBC63D00 CA00000E
	ds_read_b64_tr_b16 a[204:205], v15 offset:15360            // 00000000CF74: DBC63C00 CC00000F
	ds_read_b64_tr_b16 a[206:207], v15 offset:15616            // 00000000CF7C: DBC63D00 CE00000F
	s_waitcnt lgkmcnt(0)                                       // 00000000CF84: BF8CC07F
	v_mfma_f32_16x16x32_bf16 v[114:117], a[144:147], v[42:45], v[114:117]// 00000000CF88: D3B50072 0DCA5590
	v_mfma_f32_16x16x32_bf16 v[118:121], a[148:151], v[42:45], v[118:121]// 00000000CF90: D3B50076 0DDA5594
	v_mfma_f32_16x16x32_bf16 v[122:125], a[152:155], v[42:45], v[122:125]// 00000000CF98: D3B5007A 0DEA5598
	v_mfma_f32_16x16x32_bf16 v[126:129], a[156:159], v[42:45], v[126:129]// 00000000CFA0: D3B5007E 0DFA559C
	v_mfma_f32_16x16x32_bf16 v[130:133], a[160:163], v[42:45], v[130:133]// 00000000CFA8: D3B50082 0E0A55A0
	v_mfma_f32_16x16x32_bf16 v[134:137], a[164:167], v[42:45], v[134:137]// 00000000CFB0: D3B50086 0E1A55A4
	v_mfma_f32_16x16x32_bf16 v[138:141], a[168:171], v[42:45], v[138:141]// 00000000CFB8: D3B5008A 0E2A55A8
	v_mfma_f32_16x16x32_bf16 v[142:145], a[172:175], v[42:45], v[142:145]// 00000000CFC0: D3B5008E 0E3A55AC
	v_mfma_f32_16x16x32_bf16 v[146:149], a[176:179], v[42:45], v[146:149]// 00000000CFC8: D3B50092 0E4A55B0
	v_mfma_f32_16x16x32_bf16 v[150:153], a[180:183], v[42:45], v[150:153]// 00000000CFD0: D3B50096 0E5A55B4
	v_mfma_f32_16x16x32_bf16 v[154:157], a[184:187], v[42:45], v[154:157]// 00000000CFD8: D3B5009A 0E6A55B8
	v_mfma_f32_16x16x32_bf16 v[158:161], a[188:191], v[42:45], v[158:161]// 00000000CFE0: D3B5009E 0E7A55BC
	v_mfma_f32_16x16x32_bf16 v[162:165], a[192:195], v[42:45], v[162:165]// 00000000CFE8: D3B500A2 0E8A55C0
	v_mfma_f32_16x16x32_bf16 v[166:169], a[196:199], v[42:45], v[166:169]// 00000000CFF0: D3B500A6 0E9A55C4
	v_mfma_f32_16x16x32_bf16 v[170:173], a[200:203], v[42:45], v[170:173]// 00000000CFF8: D3B500AA 0EAA55C8
	v_mfma_f32_16x16x32_bf16 v[174:177], a[204:207], v[42:45], v[174:177]// 00000000D000: D3B500AE 0EBA55CC
	s_nop 8                                                    // 00000000D008: BF800008
	s_branch label_AD18                                        // 00000000D00C: BF820000

000000000000d010 <label_AD18>:
	v_mov_b32_e32 v28, v4                                      // 00000000D010: 7E380304
	v_mov_b32_e32 v29, v4                                      // 00000000D014: 7E3A0304
	s_nop 1                                                    // 00000000D018: BF800001
	v_permlane16_swap_b32_e32 v28, v29                         // 00000000D01C: 7E38B31D
	v_mov_b32_e32 v31, v28                                     // 00000000D020: 7E3E031C
	v_mov_b32_e32 v30, v29                                     // 00000000D024: 7E3C031D
	s_nop 1                                                    // 00000000D028: BF800001
	v_permlane32_swap_b32_e32 v28, v29                         // 00000000D02C: 7E38B51D
	v_permlane32_swap_b32_e32 v30, v31                         // 00000000D030: 7E3CB51F
	v_mov_b32_e32 v4, 0                                        // 00000000D034: 7E080280
	v_add_f32_e32 v4, v28, v4                                  // 00000000D038: 0208091C
	v_add_f32_e32 v4, v29, v4                                  // 00000000D03C: 0208091D
	v_add_f32_e32 v4, v30, v4                                  // 00000000D040: 0208091E
	v_add_f32_e32 v4, v31, v4                                  // 00000000D044: 0208091F
	v_mov_b32_e32 v28, 0                                       // 00000000D048: 7E380280
	v_cmp_eq_u32_e64 s[36:37], v28, v4                         // 00000000D04C: D0CA0024 0002091C
	v_mul_f32_e64 v28, v2, s64                                 // 00000000D054: D105001C 00008102
	v_log_f32_e32 v29, v4                                      // 00000000D05C: 7E3A4304
	s_nop 1                                                    // 00000000D060: BF800001
	v_rcp_f32_e32 v4, v4                                       // 00000000D064: 7E084504
	s_nop 1                                                    // 00000000D068: BF800001
	v_fma_f32 v1, v29, s63, v28                                // 00000000D06C: D1CB0001 04707F1D
	v_mul_f32_e32 v50, v4, v50                                 // 00000000D074: 0A646504
	v_mul_f32_e32 v51, v4, v51                                 // 00000000D078: 0A666704
	v_mul_f32_e32 v52, v4, v52                                 // 00000000D07C: 0A686904
	v_mul_f32_e32 v53, v4, v53                                 // 00000000D080: 0A6A6B04
	v_mul_f32_e32 v54, v4, v54                                 // 00000000D084: 0A6C6D04
	v_mul_f32_e32 v55, v4, v55                                 // 00000000D088: 0A6E6F04
	v_mul_f32_e32 v56, v4, v56                                 // 00000000D08C: 0A707104
	v_mul_f32_e32 v57, v4, v57                                 // 00000000D090: 0A727304
	v_mul_f32_e32 v58, v4, v58                                 // 00000000D094: 0A747504
	v_mul_f32_e32 v59, v4, v59                                 // 00000000D098: 0A767704
	v_mul_f32_e32 v60, v4, v60                                 // 00000000D09C: 0A787904
	v_mul_f32_e32 v61, v4, v61                                 // 00000000D0A0: 0A7A7B04
	v_mul_f32_e32 v62, v4, v62                                 // 00000000D0A4: 0A7C7D04
	v_mul_f32_e32 v63, v4, v63                                 // 00000000D0A8: 0A7E7F04
	v_mul_f32_e32 v64, v4, v64                                 // 00000000D0AC: 0A808104
	v_mul_f32_e32 v65, v4, v65                                 // 00000000D0B0: 0A828304
	v_mul_f32_e32 v66, v4, v66                                 // 00000000D0B4: 0A848504
	v_mul_f32_e32 v67, v4, v67                                 // 00000000D0B8: 0A868704
	v_mul_f32_e32 v68, v4, v68                                 // 00000000D0BC: 0A888904
	v_mul_f32_e32 v69, v4, v69                                 // 00000000D0C0: 0A8A8B04
	v_mul_f32_e32 v70, v4, v70                                 // 00000000D0C4: 0A8C8D04
	v_mul_f32_e32 v71, v4, v71                                 // 00000000D0C8: 0A8E8F04
	v_mul_f32_e32 v72, v4, v72                                 // 00000000D0CC: 0A909104
	v_mul_f32_e32 v73, v4, v73                                 // 00000000D0D0: 0A929304
	v_mul_f32_e32 v74, v4, v74                                 // 00000000D0D4: 0A949504
	v_mul_f32_e32 v75, v4, v75                                 // 00000000D0D8: 0A969704
	v_mul_f32_e32 v76, v4, v76                                 // 00000000D0DC: 0A989904
	v_mul_f32_e32 v77, v4, v77                                 // 00000000D0E0: 0A9A9B04
	v_mul_f32_e32 v78, v4, v78                                 // 00000000D0E4: 0A9C9D04
	v_mul_f32_e32 v79, v4, v79                                 // 00000000D0E8: 0A9E9F04
	v_mul_f32_e32 v80, v4, v80                                 // 00000000D0EC: 0AA0A104
	v_mul_f32_e32 v81, v4, v81                                 // 00000000D0F0: 0AA2A304
	v_mul_f32_e32 v82, v4, v82                                 // 00000000D0F4: 0AA4A504
	v_mul_f32_e32 v83, v4, v83                                 // 00000000D0F8: 0AA6A704
	v_mul_f32_e32 v84, v4, v84                                 // 00000000D0FC: 0AA8A904
	v_mul_f32_e32 v85, v4, v85                                 // 00000000D100: 0AAAAB04
	v_mul_f32_e32 v86, v4, v86                                 // 00000000D104: 0AACAD04
	v_mul_f32_e32 v87, v4, v87                                 // 00000000D108: 0AAEAF04
	v_mul_f32_e32 v88, v4, v88                                 // 00000000D10C: 0AB0B104
	v_mul_f32_e32 v89, v4, v89                                 // 00000000D110: 0AB2B304
	v_mul_f32_e32 v90, v4, v90                                 // 00000000D114: 0AB4B504
	v_mul_f32_e32 v91, v4, v91                                 // 00000000D118: 0AB6B704
	v_mul_f32_e32 v92, v4, v92                                 // 00000000D11C: 0AB8B904
	v_mul_f32_e32 v93, v4, v93                                 // 00000000D120: 0ABABB04
	v_mul_f32_e32 v94, v4, v94                                 // 00000000D124: 0ABCBD04
	v_mul_f32_e32 v95, v4, v95                                 // 00000000D128: 0ABEBF04
	v_mul_f32_e32 v96, v4, v96                                 // 00000000D12C: 0AC0C104
	v_mul_f32_e32 v97, v4, v97                                 // 00000000D130: 0AC2C304
	v_mul_f32_e32 v98, v4, v98                                 // 00000000D134: 0AC4C504
	v_mul_f32_e32 v99, v4, v99                                 // 00000000D138: 0AC6C704
	v_mul_f32_e32 v100, v4, v100                               // 00000000D13C: 0AC8C904
	v_mul_f32_e32 v101, v4, v101                               // 00000000D140: 0ACACB04
	v_mul_f32_e32 v102, v4, v102                               // 00000000D144: 0ACCCD04
	v_mul_f32_e32 v103, v4, v103                               // 00000000D148: 0ACECF04
	v_mul_f32_e32 v104, v4, v104                               // 00000000D14C: 0AD0D104
	v_mul_f32_e32 v105, v4, v105                               // 00000000D150: 0AD2D304
	v_mul_f32_e32 v106, v4, v106                               // 00000000D154: 0AD4D504
	v_mul_f32_e32 v107, v4, v107                               // 00000000D158: 0AD6D704
	v_mul_f32_e32 v108, v4, v108                               // 00000000D15C: 0AD8D904
	v_mul_f32_e32 v109, v4, v109                               // 00000000D160: 0ADADB04
	v_mul_f32_e32 v110, v4, v110                               // 00000000D164: 0ADCDD04
	v_mul_f32_e32 v111, v4, v111                               // 00000000D168: 0ADEDF04
	v_mul_f32_e32 v112, v4, v112                               // 00000000D16C: 0AE0E104
	v_mul_f32_e32 v113, v4, v113                               // 00000000D170: 0AE2E304
	v_mul_f32_e32 v114, v4, v114                               // 00000000D174: 0AE4E504
	v_mul_f32_e32 v115, v4, v115                               // 00000000D178: 0AE6E704
	v_mul_f32_e32 v116, v4, v116                               // 00000000D17C: 0AE8E904
	v_mul_f32_e32 v117, v4, v117                               // 00000000D180: 0AEAEB04
	v_mul_f32_e32 v118, v4, v118                               // 00000000D184: 0AECED04
	v_mul_f32_e32 v119, v4, v119                               // 00000000D188: 0AEEEF04
	v_mul_f32_e32 v120, v4, v120                               // 00000000D18C: 0AF0F104
	v_mul_f32_e32 v121, v4, v121                               // 00000000D190: 0AF2F304
	v_mul_f32_e32 v122, v4, v122                               // 00000000D194: 0AF4F504
	v_mul_f32_e32 v123, v4, v123                               // 00000000D198: 0AF6F704
	v_mul_f32_e32 v124, v4, v124                               // 00000000D19C: 0AF8F904
	v_mul_f32_e32 v125, v4, v125                               // 00000000D1A0: 0AFAFB04
	v_mul_f32_e32 v126, v4, v126                               // 00000000D1A4: 0AFCFD04
	v_mul_f32_e32 v127, v4, v127                               // 00000000D1A8: 0AFEFF04
	v_mul_f32_e32 v128, v4, v128                               // 00000000D1AC: 0B010104
	v_mul_f32_e32 v129, v4, v129                               // 00000000D1B0: 0B030304
	v_mul_f32_e32 v130, v4, v130                               // 00000000D1B4: 0B050504
	v_mul_f32_e32 v131, v4, v131                               // 00000000D1B8: 0B070704
	v_mul_f32_e32 v132, v4, v132                               // 00000000D1BC: 0B090904
	v_mul_f32_e32 v133, v4, v133                               // 00000000D1C0: 0B0B0B04
	v_mul_f32_e32 v134, v4, v134                               // 00000000D1C4: 0B0D0D04
	v_mul_f32_e32 v135, v4, v135                               // 00000000D1C8: 0B0F0F04
	v_mul_f32_e32 v136, v4, v136                               // 00000000D1CC: 0B111104
	v_mul_f32_e32 v137, v4, v137                               // 00000000D1D0: 0B131304
	v_mul_f32_e32 v138, v4, v138                               // 00000000D1D4: 0B151504
	v_mul_f32_e32 v139, v4, v139                               // 00000000D1D8: 0B171704
	v_mul_f32_e32 v140, v4, v140                               // 00000000D1DC: 0B191904
	v_mul_f32_e32 v141, v4, v141                               // 00000000D1E0: 0B1B1B04
	v_mul_f32_e32 v142, v4, v142                               // 00000000D1E4: 0B1D1D04
	v_mul_f32_e32 v143, v4, v143                               // 00000000D1E8: 0B1F1F04
	v_mul_f32_e32 v144, v4, v144                               // 00000000D1EC: 0B212104
	v_mul_f32_e32 v145, v4, v145                               // 00000000D1F0: 0B232304
	v_mul_f32_e32 v146, v4, v146                               // 00000000D1F4: 0B252504
	v_mul_f32_e32 v147, v4, v147                               // 00000000D1F8: 0B272704
	v_mul_f32_e32 v148, v4, v148                               // 00000000D1FC: 0B292904
	v_mul_f32_e32 v149, v4, v149                               // 00000000D200: 0B2B2B04
	v_mul_f32_e32 v150, v4, v150                               // 00000000D204: 0B2D2D04
	v_mul_f32_e32 v151, v4, v151                               // 00000000D208: 0B2F2F04
	v_mul_f32_e32 v152, v4, v152                               // 00000000D20C: 0B313104
	v_mul_f32_e32 v153, v4, v153                               // 00000000D210: 0B333304
	v_mul_f32_e32 v154, v4, v154                               // 00000000D214: 0B353504
	v_mul_f32_e32 v155, v4, v155                               // 00000000D218: 0B373704
	v_mul_f32_e32 v156, v4, v156                               // 00000000D21C: 0B393904
	v_mul_f32_e32 v157, v4, v157                               // 00000000D220: 0B3B3B04
	v_mul_f32_e32 v158, v4, v158                               // 00000000D224: 0B3D3D04
	v_mul_f32_e32 v159, v4, v159                               // 00000000D228: 0B3F3F04
	v_mul_f32_e32 v160, v4, v160                               // 00000000D22C: 0B414104
	v_mul_f32_e32 v161, v4, v161                               // 00000000D230: 0B434304
	v_mul_f32_e32 v162, v4, v162                               // 00000000D234: 0B454504
	v_mul_f32_e32 v163, v4, v163                               // 00000000D238: 0B474704
	v_mul_f32_e32 v164, v4, v164                               // 00000000D23C: 0B494904
	v_mul_f32_e32 v165, v4, v165                               // 00000000D240: 0B4B4B04
	v_mul_f32_e32 v166, v4, v166                               // 00000000D244: 0B4D4D04
	v_mul_f32_e32 v167, v4, v167                               // 00000000D248: 0B4F4F04
	v_mul_f32_e32 v168, v4, v168                               // 00000000D24C: 0B515104
	v_mul_f32_e32 v169, v4, v169                               // 00000000D250: 0B535304
	v_mul_f32_e32 v170, v4, v170                               // 00000000D254: 0B555504
	v_mul_f32_e32 v171, v4, v171                               // 00000000D258: 0B575704
	v_mul_f32_e32 v172, v4, v172                               // 00000000D25C: 0B595904
	v_mul_f32_e32 v173, v4, v173                               // 00000000D260: 0B5B5B04
	v_mul_f32_e32 v174, v4, v174                               // 00000000D264: 0B5D5D04
	v_mul_f32_e32 v175, v4, v175                               // 00000000D268: 0B5F5F04
	v_mul_f32_e32 v176, v4, v176                               // 00000000D26C: 0B616104
	v_mul_f32_e32 v177, v4, v177                               // 00000000D270: 0B636304
	s_cmp_eq_u32 s67, 1                                        // 00000000D274: BF068143
	s_cbranch_scc1 label_B71C                                  // 00000000D278: BF8501E6
	s_mul_i32 s56, 0x800, 16                                   // 00000000D27C: 923890FF 00000800
	s_mul_i32 s57, 0x400, 16                                   // 00000000D284: 923990FF 00000400
	s_cmp_eq_u32 s67, 1                                        // 00000000D28C: BF068143
	s_cselect_b32 s75, s57, s56                                // 00000000D290: 854B3839
	s_mul_i32 s94, s67, s75                                    // 00000000D294: 925E4B43
	s_mul_i32 s93, s92, s75                                    // 00000000D298: 925D4B5C
	s_lshr_b32 s56, s65, 4                                     // 00000000D29C: 8F388441
	s_mul_i32 s56, s93, s56                                    // 00000000D2A0: 9238385D
	s_mov_b32 s10, s56                                         // 00000000D2A4: BE8A0038
	s_mul_i32 s56, s3, s56                                     // 00000000D2A8: 92383803
	s_add_u32 s8, s56, s8                                      // 00000000D2AC: 80080838
	s_addc_u32 s9, 0, s9                                       // 00000000D2B0: 82090980
	s_mul_i32 s56, s75, s7                                     // 00000000D2B4: 9238074B
	v_lshrrev_b32_e32 v28, 5, v0                               // 00000000D2B8: 20380085
	s_mov_b32 s57, 0x800                                       // 00000000D2BC: BEB900FF 00000800
	v_mul_i32_i24_e32 v28, s57, v28                            // 00000000D2C4: 0C383839
	v_and_b32_e32 v5, 31, v0                                   // 00000000D2C8: 260A009F
	v_lshlrev_b32_e32 v5, 4, v5                                // 00000000D2CC: 240A0A84
	v_add_u32_e32 v5, v5, v28                                  // 00000000D2D0: 680A3905
	v_add_u32_e64 v5, v5, s56                                  // 00000000D2D4: D1340005 00007105
	s_lshr_b32 s56, s65, 4                                     // 00000000D2DC: 8F388441
	s_mul_i32 s56, s75, s56                                    // 00000000D2E0: 9238384B
	s_mul_i32 s56, s4, s56                                     // 00000000D2E4: 92383804
	v_add_u32_e64 v5, v5, s56                                  // 00000000D2E8: D1340005 00007105
	s_mul_i32 s57, 4, 16                                       // 00000000D2F0: 92399084
	s_lshr_b32 s56, s65, 4                                     // 00000000D2F4: 8F388441
	s_mul_i32 s56, s57, s56                                    // 00000000D2F8: 92383839
	s_mul_i32 s56, s3, s56                                     // 00000000D2FC: 92383803
	s_add_u32 s96, s56, s96                                    // 00000000D300: 80606038
	s_addc_u32 s97, 0, s97                                     // 00000000D304: 82616180
	v_and_b32_e32 v4, 15, v0                                   // 00000000D308: 2608008F
	v_lshlrev_b32_e32 v4, 2, v4                                // 00000000D30C: 24080882
	s_mul_i32 s56, s57, s7                                     // 00000000D310: 92380739
	v_add_u32_e64 v4, v4, s56                                  // 00000000D314: D1340004 00007104
	s_mul_i32 s58, 4, 16                                       // 00000000D31C: 923A9084
	s_mul_i32 s77, s67, s58                                    // 00000000D320: 924D3A43
	s_mul_i32 s57, s92, s58                                    // 00000000D324: 92393A5C
	s_lshr_b32 s56, s65, 4                                     // 00000000D328: 8F388441
	s_mul_i32 s56, s57, s56                                    // 00000000D32C: 92383839
	s_mov_b32 s14, s56                                         // 00000000D330: BE8E0038
	s_mul_i32 s56, s3, s56                                     // 00000000D334: 92383803
	s_add_u32 s12, s56, s12                                    // 00000000D338: 800C0C38
	s_addc_u32 s13, 0, s13                                     // 00000000D33C: 820D0D80
	v_and_b32_e32 v4, 15, v0                                   // 00000000D340: 2608008F
	v_lshlrev_b32_e32 v4, 2, v4                                // 00000000D344: 24080882
	s_mul_i32 s56, s7, s58                                     // 00000000D348: 92383A07
	v_add_u32_e64 v4, v4, s56                                  // 00000000D34C: D1340004 00007104
	s_lshr_b32 s56, s65, 4                                     // 00000000D354: 8F388441
	s_mul_i32 s56, s58, s56                                    // 00000000D358: 9238383A
	s_mul_i32 s56, s4, s56                                     // 00000000D35C: 92383804
	v_add_u32_e64 v4, v4, s56                                  // 00000000D360: D1340004 00007104
	v_mov_b32_e32 v2, v5                                       // 00000000D368: 7E040305
	s_waitcnt vmcnt(0)                                         // 00000000D36C: BF8C0F70
	s_waitcnt lgkmcnt(0)                                       // 00000000D370: BF8CC07F
	v_lshlrev_b32_e32 v16, 2, v0                               // 00000000D374: 24200082
	s_mul_i32 s56, s7, 0x840                                   // 00000000D378: 9238FF07 00000840
	v_add_u32_e32 v16, s56, v16                                // 00000000D380: 68202038
	v_lshlrev_b32_e32 v16, 2, v16                              // 00000000D384: 24202082
	v_lshrrev_b32_e32 v28, 5, v0                               // 00000000D388: 20380085
	v_mul_i32_i24_e32 v3, 4, v28                               // 00000000D38C: 0C063884
	v_and_b32_e32 v28, 31, v0                                  // 00000000D390: 2638009F
	v_lshrrev_b32_e32 v28, 2, v28                              // 00000000D394: 20383882
	v_mul_i32_i24_e32 v28, 8, v28                              // 00000000D398: 0C383888
	v_add_u32_e32 v3, v28, v3                                  // 00000000D39C: 6806071C
	v_and_b32_e32 v28, 31, v0                                  // 00000000D3A0: 2638009F
	v_mul_i32_i24_e32 v28, 64, v28                             // 00000000D3A4: 0C3838C0
	v_add_u32_e32 v3, v28, v3                                  // 00000000D3A8: 6806071C
	s_mul_i32 s56, s7, 0x840                                   // 00000000D3AC: 9238FF07 00000840
	v_add_u32_e32 v3, s56, v3                                  // 00000000D3B4: 68060638
	v_lshlrev_b32_e32 v3, 2, v3                                // 00000000D3B8: 24060682
	s_mul_i32 s56, 0, s94                                      // 00000000D3BC: 92385E80
	v_add_u32_e64 v2, v2, s56                                  // 00000000D3C0: D1340002 00007102
	v_mov_b32_e32 v28, v50                                     // 00000000D3C8: 7E380332
	v_mov_b32_e32 v29, v51                                     // 00000000D3CC: 7E3A0333
	v_mov_b32_e32 v30, v52                                     // 00000000D3D0: 7E3C0334
	v_mov_b32_e32 v31, v53                                     // 00000000D3D4: 7E3E0335
	ds_write_b128 v16, v[28:31]                                // 00000000D3D8: D9BE0000 00001C10
	v_mov_b32_e32 v28, v54                                     // 00000000D3E0: 7E380336
	v_mov_b32_e32 v29, v55                                     // 00000000D3E4: 7E3A0337
	v_mov_b32_e32 v30, v56                                     // 00000000D3E8: 7E3C0338
	v_mov_b32_e32 v31, v57                                     // 00000000D3EC: 7E3E0339
	ds_write_b128 v16, v[28:31] offset:1056                    // 00000000D3F0: D9BE0420 00001C10
	v_mov_b32_e32 v28, v58                                     // 00000000D3F8: 7E38033A
	v_mov_b32_e32 v29, v59                                     // 00000000D3FC: 7E3A033B
	v_mov_b32_e32 v30, v60                                     // 00000000D400: 7E3C033C
	v_mov_b32_e32 v31, v61                                     // 00000000D404: 7E3E033D
	ds_write_b128 v16, v[28:31] offset:2112                    // 00000000D408: D9BE0840 00001C10
	v_mov_b32_e32 v28, v62                                     // 00000000D410: 7E38033E
	v_mov_b32_e32 v29, v63                                     // 00000000D414: 7E3A033F
	v_mov_b32_e32 v30, v64                                     // 00000000D418: 7E3C0340
	v_mov_b32_e32 v31, v65                                     // 00000000D41C: 7E3E0341
	ds_write_b128 v16, v[28:31] offset:3168                    // 00000000D420: D9BE0C60 00001C10
	v_mov_b32_e32 v28, v66                                     // 00000000D428: 7E380342
	v_mov_b32_e32 v29, v67                                     // 00000000D42C: 7E3A0343
	v_mov_b32_e32 v30, v68                                     // 00000000D430: 7E3C0344
	v_mov_b32_e32 v31, v69                                     // 00000000D434: 7E3E0345
	ds_write_b128 v16, v[28:31] offset:4224                    // 00000000D438: D9BE1080 00001C10
	v_mov_b32_e32 v28, v70                                     // 00000000D440: 7E380346
	v_mov_b32_e32 v29, v71                                     // 00000000D444: 7E3A0347
	v_mov_b32_e32 v30, v72                                     // 00000000D448: 7E3C0348
	v_mov_b32_e32 v31, v73                                     // 00000000D44C: 7E3E0349
	ds_write_b128 v16, v[28:31] offset:5280                    // 00000000D450: D9BE14A0 00001C10
	v_mov_b32_e32 v28, v74                                     // 00000000D458: 7E38034A
	v_mov_b32_e32 v29, v75                                     // 00000000D45C: 7E3A034B
	v_mov_b32_e32 v30, v76                                     // 00000000D460: 7E3C034C
	v_mov_b32_e32 v31, v77                                     // 00000000D464: 7E3E034D
	ds_write_b128 v16, v[28:31] offset:6336                    // 00000000D468: D9BE18C0 00001C10
	v_mov_b32_e32 v28, v78                                     // 00000000D470: 7E38034E
	v_mov_b32_e32 v29, v79                                     // 00000000D474: 7E3A034F
	v_mov_b32_e32 v30, v80                                     // 00000000D478: 7E3C0350
	v_mov_b32_e32 v31, v81                                     // 00000000D47C: 7E3E0351
	ds_write_b128 v16, v[28:31] offset:7392                    // 00000000D480: D9BE1CE0 00001C10
	s_waitcnt lgkmcnt(4)                                       // 00000000D488: BF8CC47F
	ds_read_b128 v[50:53], v3                                  // 00000000D48C: D9FE0000 32000003
	ds_read_b128 v[54:57], v3 offset:32                        // 00000000D494: D9FE0020 36000003
	ds_read_b128 v[58:61], v3 offset:64                        // 00000000D49C: D9FE0040 3A000003
	ds_read_b128 v[62:65], v3 offset:96                        // 00000000D4A4: D9FE0060 3E000003
	s_waitcnt lgkmcnt(4)                                       // 00000000D4AC: BF8CC47F
	ds_read_b128 v[66:69], v3 offset:128                       // 00000000D4B0: D9FE0080 42000003
	ds_read_b128 v[70:73], v3 offset:160                       // 00000000D4B8: D9FE00A0 46000003
	ds_read_b128 v[74:77], v3 offset:192                       // 00000000D4C0: D9FE00C0 4A000003
	ds_read_b128 v[78:81], v3 offset:224                       // 00000000D4C8: D9FE00E0 4E000003
	s_waitcnt lgkmcnt(0)                                       // 00000000D4D0: BF8CC07F
	v_mov_b32_e32 v5, v2                                       // 00000000D4D4: 7E0A0302
	buffer_store_dwordx4 v[50:53], v5, s[8:11], 0 offen        // 00000000D4D8: E07C1000 80023205
	v_add_u32_e32 v5, 0x1000, v5                               // 00000000D4E0: 680A0AFF 00001000
	buffer_store_dwordx4 v[54:57], v5, s[8:11], 0 offen        // 00000000D4E8: E07C1000 80023605
	v_add_u32_e32 v5, 0x1000, v5                               // 00000000D4F0: 680A0AFF 00001000
	buffer_store_dwordx4 v[58:61], v5, s[8:11], 0 offen        // 00000000D4F8: E07C1000 80023A05
	v_add_u32_e32 v5, 0x1000, v5                               // 00000000D500: 680A0AFF 00001000
	buffer_store_dwordx4 v[62:65], v5, s[8:11], 0 offen        // 00000000D508: E07C1000 80023E05
	v_add_u32_e32 v5, 0x1000, v5                               // 00000000D510: 680A0AFF 00001000
	buffer_store_dwordx4 v[66:69], v5, s[8:11], 0 offen        // 00000000D518: E07C1000 80024205
	v_add_u32_e32 v5, 0x1000, v5                               // 00000000D520: 680A0AFF 00001000
	buffer_store_dwordx4 v[70:73], v5, s[8:11], 0 offen        // 00000000D528: E07C1000 80024605
	v_add_u32_e32 v5, 0x1000, v5                               // 00000000D530: 680A0AFF 00001000
	buffer_store_dwordx4 v[74:77], v5, s[8:11], 0 offen        // 00000000D538: E07C1000 80024A05
	v_add_u32_e32 v5, 0x1000, v5                               // 00000000D540: 680A0AFF 00001000
	buffer_store_dwordx4 v[78:81], v5, s[8:11], 0 offen        // 00000000D548: E07C1000 80024E05
	v_add_u32_e32 v5, 0x1000, v5                               // 00000000D550: 680A0AFF 00001000
	v_mov_b32_e32 v28, v82                                     // 00000000D558: 7E380352
	v_mov_b32_e32 v29, v83                                     // 00000000D55C: 7E3A0353
	v_mov_b32_e32 v30, v84                                     // 00000000D560: 7E3C0354
	v_mov_b32_e32 v31, v85                                     // 00000000D564: 7E3E0355
	ds_write_b128 v16, v[28:31]                                // 00000000D568: D9BE0000 00001C10
	v_mov_b32_e32 v28, v86                                     // 00000000D570: 7E380356
	v_mov_b32_e32 v29, v87                                     // 00000000D574: 7E3A0357
	v_mov_b32_e32 v30, v88                                     // 00000000D578: 7E3C0358
	v_mov_b32_e32 v31, v89                                     // 00000000D57C: 7E3E0359
	ds_write_b128 v16, v[28:31] offset:1056                    // 00000000D580: D9BE0420 00001C10
	v_mov_b32_e32 v28, v90                                     // 00000000D588: 7E38035A
	v_mov_b32_e32 v29, v91                                     // 00000000D58C: 7E3A035B
	v_mov_b32_e32 v30, v92                                     // 00000000D590: 7E3C035C
	v_mov_b32_e32 v31, v93                                     // 00000000D594: 7E3E035D
	ds_write_b128 v16, v[28:31] offset:2112                    // 00000000D598: D9BE0840 00001C10
	v_mov_b32_e32 v28, v94                                     // 00000000D5A0: 7E38035E
	v_mov_b32_e32 v29, v95                                     // 00000000D5A4: 7E3A035F
	v_mov_b32_e32 v30, v96                                     // 00000000D5A8: 7E3C0360
	v_mov_b32_e32 v31, v97                                     // 00000000D5AC: 7E3E0361
	ds_write_b128 v16, v[28:31] offset:3168                    // 00000000D5B0: D9BE0C60 00001C10
	v_mov_b32_e32 v28, v98                                     // 00000000D5B8: 7E380362
	v_mov_b32_e32 v29, v99                                     // 00000000D5BC: 7E3A0363
	v_mov_b32_e32 v30, v100                                    // 00000000D5C0: 7E3C0364
	v_mov_b32_e32 v31, v101                                    // 00000000D5C4: 7E3E0365
	ds_write_b128 v16, v[28:31] offset:4224                    // 00000000D5C8: D9BE1080 00001C10
	v_mov_b32_e32 v28, v102                                    // 00000000D5D0: 7E380366
	v_mov_b32_e32 v29, v103                                    // 00000000D5D4: 7E3A0367
	v_mov_b32_e32 v30, v104                                    // 00000000D5D8: 7E3C0368
	v_mov_b32_e32 v31, v105                                    // 00000000D5DC: 7E3E0369
	ds_write_b128 v16, v[28:31] offset:5280                    // 00000000D5E0: D9BE14A0 00001C10
	v_mov_b32_e32 v28, v106                                    // 00000000D5E8: 7E38036A
	v_mov_b32_e32 v29, v107                                    // 00000000D5EC: 7E3A036B
	v_mov_b32_e32 v30, v108                                    // 00000000D5F0: 7E3C036C
	v_mov_b32_e32 v31, v109                                    // 00000000D5F4: 7E3E036D
	ds_write_b128 v16, v[28:31] offset:6336                    // 00000000D5F8: D9BE18C0 00001C10
	v_mov_b32_e32 v28, v110                                    // 00000000D600: 7E38036E
	v_mov_b32_e32 v29, v111                                    // 00000000D604: 7E3A036F
	v_mov_b32_e32 v30, v112                                    // 00000000D608: 7E3C0370
	v_mov_b32_e32 v31, v113                                    // 00000000D60C: 7E3E0371
	ds_write_b128 v16, v[28:31] offset:7392                    // 00000000D610: D9BE1CE0 00001C10
	s_waitcnt lgkmcnt(4)                                       // 00000000D618: BF8CC47F
	ds_read_b128 v[50:53], v3                                  // 00000000D61C: D9FE0000 32000003
	ds_read_b128 v[54:57], v3 offset:32                        // 00000000D624: D9FE0020 36000003
	ds_read_b128 v[58:61], v3 offset:64                        // 00000000D62C: D9FE0040 3A000003
	ds_read_b128 v[62:65], v3 offset:96                        // 00000000D634: D9FE0060 3E000003
	s_waitcnt lgkmcnt(4)                                       // 00000000D63C: BF8CC47F
	ds_read_b128 v[66:69], v3 offset:128                       // 00000000D640: D9FE0080 42000003
	ds_read_b128 v[70:73], v3 offset:160                       // 00000000D648: D9FE00A0 46000003
	ds_read_b128 v[74:77], v3 offset:192                       // 00000000D650: D9FE00C0 4A000003
	ds_read_b128 v[78:81], v3 offset:224                       // 00000000D658: D9FE00E0 4E000003
	s_waitcnt lgkmcnt(0)                                       // 00000000D660: BF8CC07F
	v_mov_b32_e32 v5, v2                                       // 00000000D664: 7E0A0302
	buffer_store_dwordx4 v[50:53], v5, s[8:11], 0 offen offset:512// 00000000D668: E07C1200 80023205
	v_add_u32_e32 v5, 0x1000, v5                               // 00000000D670: 680A0AFF 00001000
	buffer_store_dwordx4 v[54:57], v5, s[8:11], 0 offen offset:512// 00000000D678: E07C1200 80023605
	v_add_u32_e32 v5, 0x1000, v5                               // 00000000D680: 680A0AFF 00001000
	buffer_store_dwordx4 v[58:61], v5, s[8:11], 0 offen offset:512// 00000000D688: E07C1200 80023A05
	v_add_u32_e32 v5, 0x1000, v5                               // 00000000D690: 680A0AFF 00001000
	buffer_store_dwordx4 v[62:65], v5, s[8:11], 0 offen offset:512// 00000000D698: E07C1200 80023E05
	v_add_u32_e32 v5, 0x1000, v5                               // 00000000D6A0: 680A0AFF 00001000
	buffer_store_dwordx4 v[66:69], v5, s[8:11], 0 offen offset:512// 00000000D6A8: E07C1200 80024205
	v_add_u32_e32 v5, 0x1000, v5                               // 00000000D6B0: 680A0AFF 00001000
	buffer_store_dwordx4 v[70:73], v5, s[8:11], 0 offen offset:512// 00000000D6B8: E07C1200 80024605
	v_add_u32_e32 v5, 0x1000, v5                               // 00000000D6C0: 680A0AFF 00001000
	buffer_store_dwordx4 v[74:77], v5, s[8:11], 0 offen offset:512// 00000000D6C8: E07C1200 80024A05
	v_add_u32_e32 v5, 0x1000, v5                               // 00000000D6D0: 680A0AFF 00001000
	buffer_store_dwordx4 v[78:81], v5, s[8:11], 0 offen offset:512// 00000000D6D8: E07C1200 80024E05
	v_add_u32_e32 v5, 0x1000, v5                               // 00000000D6E0: 680A0AFF 00001000
	v_mov_b32_e32 v28, v114                                    // 00000000D6E8: 7E380372
	v_mov_b32_e32 v29, v115                                    // 00000000D6EC: 7E3A0373
	v_mov_b32_e32 v30, v116                                    // 00000000D6F0: 7E3C0374
	v_mov_b32_e32 v31, v117                                    // 00000000D6F4: 7E3E0375
	ds_write_b128 v16, v[28:31]                                // 00000000D6F8: D9BE0000 00001C10
	v_mov_b32_e32 v28, v118                                    // 00000000D700: 7E380376
	v_mov_b32_e32 v29, v119                                    // 00000000D704: 7E3A0377
	v_mov_b32_e32 v30, v120                                    // 00000000D708: 7E3C0378
	v_mov_b32_e32 v31, v121                                    // 00000000D70C: 7E3E0379
	ds_write_b128 v16, v[28:31] offset:1056                    // 00000000D710: D9BE0420 00001C10
	v_mov_b32_e32 v28, v122                                    // 00000000D718: 7E38037A
	v_mov_b32_e32 v29, v123                                    // 00000000D71C: 7E3A037B
	v_mov_b32_e32 v30, v124                                    // 00000000D720: 7E3C037C
	v_mov_b32_e32 v31, v125                                    // 00000000D724: 7E3E037D
	ds_write_b128 v16, v[28:31] offset:2112                    // 00000000D728: D9BE0840 00001C10
	v_mov_b32_e32 v28, v126                                    // 00000000D730: 7E38037E
	v_mov_b32_e32 v29, v127                                    // 00000000D734: 7E3A037F
	v_mov_b32_e32 v30, v128                                    // 00000000D738: 7E3C0380
	v_mov_b32_e32 v31, v129                                    // 00000000D73C: 7E3E0381
	ds_write_b128 v16, v[28:31] offset:3168                    // 00000000D740: D9BE0C60 00001C10
	v_mov_b32_e32 v28, v130                                    // 00000000D748: 7E380382
	v_mov_b32_e32 v29, v131                                    // 00000000D74C: 7E3A0383
	v_mov_b32_e32 v30, v132                                    // 00000000D750: 7E3C0384
	v_mov_b32_e32 v31, v133                                    // 00000000D754: 7E3E0385
	ds_write_b128 v16, v[28:31] offset:4224                    // 00000000D758: D9BE1080 00001C10
	v_mov_b32_e32 v28, v134                                    // 00000000D760: 7E380386
	v_mov_b32_e32 v29, v135                                    // 00000000D764: 7E3A0387
	v_mov_b32_e32 v30, v136                                    // 00000000D768: 7E3C0388
	v_mov_b32_e32 v31, v137                                    // 00000000D76C: 7E3E0389
	ds_write_b128 v16, v[28:31] offset:5280                    // 00000000D770: D9BE14A0 00001C10
	v_mov_b32_e32 v28, v138                                    // 00000000D778: 7E38038A
	v_mov_b32_e32 v29, v139                                    // 00000000D77C: 7E3A038B
	v_mov_b32_e32 v30, v140                                    // 00000000D780: 7E3C038C
	v_mov_b32_e32 v31, v141                                    // 00000000D784: 7E3E038D
	ds_write_b128 v16, v[28:31] offset:6336                    // 00000000D788: D9BE18C0 00001C10
	v_mov_b32_e32 v28, v142                                    // 00000000D790: 7E38038E
	v_mov_b32_e32 v29, v143                                    // 00000000D794: 7E3A038F
	v_mov_b32_e32 v30, v144                                    // 00000000D798: 7E3C0390
	v_mov_b32_e32 v31, v145                                    // 00000000D79C: 7E3E0391
	ds_write_b128 v16, v[28:31] offset:7392                    // 00000000D7A0: D9BE1CE0 00001C10
	s_waitcnt lgkmcnt(4)                                       // 00000000D7A8: BF8CC47F
	ds_read_b128 v[50:53], v3                                  // 00000000D7AC: D9FE0000 32000003
	ds_read_b128 v[54:57], v3 offset:32                        // 00000000D7B4: D9FE0020 36000003
	ds_read_b128 v[58:61], v3 offset:64                        // 00000000D7BC: D9FE0040 3A000003
	ds_read_b128 v[62:65], v3 offset:96                        // 00000000D7C4: D9FE0060 3E000003
	s_waitcnt lgkmcnt(4)                                       // 00000000D7CC: BF8CC47F
	ds_read_b128 v[66:69], v3 offset:128                       // 00000000D7D0: D9FE0080 42000003
	ds_read_b128 v[70:73], v3 offset:160                       // 00000000D7D8: D9FE00A0 46000003
	ds_read_b128 v[74:77], v3 offset:192                       // 00000000D7E0: D9FE00C0 4A000003
	ds_read_b128 v[78:81], v3 offset:224                       // 00000000D7E8: D9FE00E0 4E000003
	s_waitcnt lgkmcnt(0)                                       // 00000000D7F0: BF8CC07F
	v_mov_b32_e32 v5, v2                                       // 00000000D7F4: 7E0A0302
	buffer_store_dwordx4 v[50:53], v5, s[8:11], 0 offen offset:1024// 00000000D7F8: E07C1400 80023205
	v_add_u32_e32 v5, 0x1000, v5                               // 00000000D800: 680A0AFF 00001000
	buffer_store_dwordx4 v[54:57], v5, s[8:11], 0 offen offset:1024// 00000000D808: E07C1400 80023605
	v_add_u32_e32 v5, 0x1000, v5                               // 00000000D810: 680A0AFF 00001000
	buffer_store_dwordx4 v[58:61], v5, s[8:11], 0 offen offset:1024// 00000000D818: E07C1400 80023A05
	v_add_u32_e32 v5, 0x1000, v5                               // 00000000D820: 680A0AFF 00001000
	buffer_store_dwordx4 v[62:65], v5, s[8:11], 0 offen offset:1024// 00000000D828: E07C1400 80023E05
	v_add_u32_e32 v5, 0x1000, v5                               // 00000000D830: 680A0AFF 00001000
	buffer_store_dwordx4 v[66:69], v5, s[8:11], 0 offen offset:1024// 00000000D838: E07C1400 80024205
	v_add_u32_e32 v5, 0x1000, v5                               // 00000000D840: 680A0AFF 00001000
	buffer_store_dwordx4 v[70:73], v5, s[8:11], 0 offen offset:1024// 00000000D848: E07C1400 80024605
	v_add_u32_e32 v5, 0x1000, v5                               // 00000000D850: 680A0AFF 00001000
	buffer_store_dwordx4 v[74:77], v5, s[8:11], 0 offen offset:1024// 00000000D858: E07C1400 80024A05
	v_add_u32_e32 v5, 0x1000, v5                               // 00000000D860: 680A0AFF 00001000
	buffer_store_dwordx4 v[78:81], v5, s[8:11], 0 offen offset:1024// 00000000D868: E07C1400 80024E05
	v_add_u32_e32 v5, 0x1000, v5                               // 00000000D870: 680A0AFF 00001000
	v_mov_b32_e32 v28, v146                                    // 00000000D878: 7E380392
	v_mov_b32_e32 v29, v147                                    // 00000000D87C: 7E3A0393
	v_mov_b32_e32 v30, v148                                    // 00000000D880: 7E3C0394
	v_mov_b32_e32 v31, v149                                    // 00000000D884: 7E3E0395
	ds_write_b128 v16, v[28:31]                                // 00000000D888: D9BE0000 00001C10
	v_mov_b32_e32 v28, v150                                    // 00000000D890: 7E380396
	v_mov_b32_e32 v29, v151                                    // 00000000D894: 7E3A0397
	v_mov_b32_e32 v30, v152                                    // 00000000D898: 7E3C0398
	v_mov_b32_e32 v31, v153                                    // 00000000D89C: 7E3E0399
	ds_write_b128 v16, v[28:31] offset:1056                    // 00000000D8A0: D9BE0420 00001C10
	v_mov_b32_e32 v28, v154                                    // 00000000D8A8: 7E38039A
	v_mov_b32_e32 v29, v155                                    // 00000000D8AC: 7E3A039B
	v_mov_b32_e32 v30, v156                                    // 00000000D8B0: 7E3C039C
	v_mov_b32_e32 v31, v157                                    // 00000000D8B4: 7E3E039D
	ds_write_b128 v16, v[28:31] offset:2112                    // 00000000D8B8: D9BE0840 00001C10
	v_mov_b32_e32 v28, v158                                    // 00000000D8C0: 7E38039E
	v_mov_b32_e32 v29, v159                                    // 00000000D8C4: 7E3A039F
	v_mov_b32_e32 v30, v160                                    // 00000000D8C8: 7E3C03A0
	v_mov_b32_e32 v31, v161                                    // 00000000D8CC: 7E3E03A1
	ds_write_b128 v16, v[28:31] offset:3168                    // 00000000D8D0: D9BE0C60 00001C10
	v_mov_b32_e32 v28, v162                                    // 00000000D8D8: 7E3803A2
	v_mov_b32_e32 v29, v163                                    // 00000000D8DC: 7E3A03A3
	v_mov_b32_e32 v30, v164                                    // 00000000D8E0: 7E3C03A4
	v_mov_b32_e32 v31, v165                                    // 00000000D8E4: 7E3E03A5
	ds_write_b128 v16, v[28:31] offset:4224                    // 00000000D8E8: D9BE1080 00001C10
	v_mov_b32_e32 v28, v166                                    // 00000000D8F0: 7E3803A6
	v_mov_b32_e32 v29, v167                                    // 00000000D8F4: 7E3A03A7
	v_mov_b32_e32 v30, v168                                    // 00000000D8F8: 7E3C03A8
	v_mov_b32_e32 v31, v169                                    // 00000000D8FC: 7E3E03A9
	ds_write_b128 v16, v[28:31] offset:5280                    // 00000000D900: D9BE14A0 00001C10
	v_mov_b32_e32 v28, v170                                    // 00000000D908: 7E3803AA
	v_mov_b32_e32 v29, v171                                    // 00000000D90C: 7E3A03AB
	v_mov_b32_e32 v30, v172                                    // 00000000D910: 7E3C03AC
	v_mov_b32_e32 v31, v173                                    // 00000000D914: 7E3E03AD
	ds_write_b128 v16, v[28:31] offset:6336                    // 00000000D918: D9BE18C0 00001C10
	v_mov_b32_e32 v28, v174                                    // 00000000D920: 7E3803AE
	v_mov_b32_e32 v29, v175                                    // 00000000D924: 7E3A03AF
	v_mov_b32_e32 v30, v176                                    // 00000000D928: 7E3C03B0
	v_mov_b32_e32 v31, v177                                    // 00000000D92C: 7E3E03B1
	ds_write_b128 v16, v[28:31] offset:7392                    // 00000000D930: D9BE1CE0 00001C10
	s_waitcnt lgkmcnt(4)                                       // 00000000D938: BF8CC47F
	ds_read_b128 v[50:53], v3                                  // 00000000D93C: D9FE0000 32000003
	ds_read_b128 v[54:57], v3 offset:32                        // 00000000D944: D9FE0020 36000003
	ds_read_b128 v[58:61], v3 offset:64                        // 00000000D94C: D9FE0040 3A000003
	ds_read_b128 v[62:65], v3 offset:96                        // 00000000D954: D9FE0060 3E000003
	s_waitcnt lgkmcnt(4)                                       // 00000000D95C: BF8CC47F
	ds_read_b128 v[66:69], v3 offset:128                       // 00000000D960: D9FE0080 42000003
	ds_read_b128 v[70:73], v3 offset:160                       // 00000000D968: D9FE00A0 46000003
	ds_read_b128 v[74:77], v3 offset:192                       // 00000000D970: D9FE00C0 4A000003
	ds_read_b128 v[78:81], v3 offset:224                       // 00000000D978: D9FE00E0 4E000003
	s_waitcnt lgkmcnt(0)                                       // 00000000D980: BF8CC07F
	v_mov_b32_e32 v5, v2                                       // 00000000D984: 7E0A0302
	buffer_store_dwordx4 v[50:53], v5, s[8:11], 0 offen offset:1536// 00000000D988: E07C1600 80023205
	v_add_u32_e32 v5, 0x1000, v5                               // 00000000D990: 680A0AFF 00001000
	buffer_store_dwordx4 v[54:57], v5, s[8:11], 0 offen offset:1536// 00000000D998: E07C1600 80023605
	v_add_u32_e32 v5, 0x1000, v5                               // 00000000D9A0: 680A0AFF 00001000
	buffer_store_dwordx4 v[58:61], v5, s[8:11], 0 offen offset:1536// 00000000D9A8: E07C1600 80023A05
	v_add_u32_e32 v5, 0x1000, v5                               // 00000000D9B0: 680A0AFF 00001000
	buffer_store_dwordx4 v[62:65], v5, s[8:11], 0 offen offset:1536// 00000000D9B8: E07C1600 80023E05
	v_add_u32_e32 v5, 0x1000, v5                               // 00000000D9C0: 680A0AFF 00001000
	buffer_store_dwordx4 v[66:69], v5, s[8:11], 0 offen offset:1536// 00000000D9C8: E07C1600 80024205
	v_add_u32_e32 v5, 0x1000, v5                               // 00000000D9D0: 680A0AFF 00001000
	buffer_store_dwordx4 v[70:73], v5, s[8:11], 0 offen offset:1536// 00000000D9D8: E07C1600 80024605
	v_add_u32_e32 v5, 0x1000, v5                               // 00000000D9E0: 680A0AFF 00001000
	buffer_store_dwordx4 v[74:77], v5, s[8:11], 0 offen offset:1536// 00000000D9E8: E07C1600 80024A05
	v_add_u32_e32 v5, 0x1000, v5                               // 00000000D9F0: 680A0AFF 00001000
	buffer_store_dwordx4 v[78:81], v5, s[8:11], 0 offen offset:1536// 00000000D9F8: E07C1600 80024E05
	v_add_u32_e32 v5, 0x1000, v5                               // 00000000DA00: 680A0AFF 00001000
	buffer_store_dword v1, v4, s[12:15], 0 offen               // 00000000DA08: E0701000 80030104
	s_branch label_BEE0                                        // 00000000DA10: BF8201F1

000000000000da14 <label_B71C>:
	s_mul_i32 s56, 0x800, 16                                   // 00000000DA14: 923890FF 00000800
	s_mul_i32 s57, 0x400, 16                                   // 00000000DA1C: 923990FF 00000400
	s_cmp_eq_u32 s67, 1                                        // 00000000DA24: BF068143
	s_cselect_b32 s75, s57, s56                                // 00000000DA28: 854B3839
	s_mul_i32 s94, s67, s75                                    // 00000000DA2C: 925E4B43
	s_mul_i32 s93, s92, s75                                    // 00000000DA30: 925D4B5C
	s_lshr_b32 s56, s65, 4                                     // 00000000DA34: 8F388441
	s_mul_i32 s56, s93, s56                                    // 00000000DA38: 9238385D
	s_mov_b32 s10, s56                                         // 00000000DA3C: BE8A0038
	s_mul_i32 s56, s3, s56                                     // 00000000DA40: 92383803
	s_add_u32 s8, s56, s8                                      // 00000000DA44: 80080838
	s_addc_u32 s9, 0, s9                                       // 00000000DA48: 82090980
	s_mul_i32 s56, s75, s7                                     // 00000000DA4C: 9238074B
	v_lshrrev_b32_e32 v28, 5, v0                               // 00000000DA50: 20380085
	s_mov_b32 s57, 0x800                                       // 00000000DA54: BEB900FF 00000800
	v_mul_i32_i24_e32 v28, s57, v28                            // 00000000DA5C: 0C383839
	v_and_b32_e32 v5, 31, v0                                   // 00000000DA60: 260A009F
	v_lshlrev_b32_e32 v5, 4, v5                                // 00000000DA64: 240A0A84
	v_add_u32_e32 v5, v5, v28                                  // 00000000DA68: 680A3905
	v_add_u32_e64 v5, v5, s56                                  // 00000000DA6C: D1340005 00007105
	s_lshr_b32 s56, s65, 4                                     // 00000000DA74: 8F388441
	s_mul_i32 s56, s75, s56                                    // 00000000DA78: 9238384B
	s_mul_i32 s56, s4, s56                                     // 00000000DA7C: 92383804
	v_add_u32_e64 v5, v5, s56                                  // 00000000DA80: D1340005 00007105
	s_mul_i32 s57, 4, 16                                       // 00000000DA88: 92399084
	s_lshr_b32 s56, s65, 4                                     // 00000000DA8C: 8F388441
	s_mul_i32 s56, s57, s56                                    // 00000000DA90: 92383839
	s_mul_i32 s56, s3, s56                                     // 00000000DA94: 92383803
	s_add_u32 s96, s56, s96                                    // 00000000DA98: 80606038
	s_addc_u32 s97, 0, s97                                     // 00000000DA9C: 82616180
	v_and_b32_e32 v4, 15, v0                                   // 00000000DAA0: 2608008F
	v_lshlrev_b32_e32 v4, 2, v4                                // 00000000DAA4: 24080882
	s_mul_i32 s56, s57, s7                                     // 00000000DAA8: 92380739
	v_add_u32_e64 v4, v4, s56                                  // 00000000DAAC: D1340004 00007104
	v_lshlrev_b32_e32 v2, 3, v0                                // 00000000DAB4: 24040083
	s_mov_b32 s56, 0x5000                                      // 00000000DAB8: BEB800FF 00005000
	s_mul_i32 s56, s7, s56                                     // 00000000DAC0: 92383807
	v_add_u32_e32 v2, s56, v2                                  // 00000000DAC4: 68040438
	v_cvt_pk_bf16_f32 v50, v50, v51                            // 00000000DAC8: D2680032 00026732
	v_cvt_pk_bf16_f32 v51, v52, v53                            // 00000000DAD0: D2680033 00026B34
	v_cvt_pk_bf16_f32 v52, v54, v55                            // 00000000DAD8: D2680034 00026F36
	v_cvt_pk_bf16_f32 v53, v56, v57                            // 00000000DAE0: D2680035 00027338
	v_cvt_pk_bf16_f32 v54, v58, v59                            // 00000000DAE8: D2680036 0002773A
	v_cvt_pk_bf16_f32 v55, v60, v61                            // 00000000DAF0: D2680037 00027B3C
	v_cvt_pk_bf16_f32 v56, v62, v63                            // 00000000DAF8: D2680038 00027F3E
	v_cvt_pk_bf16_f32 v57, v64, v65                            // 00000000DB00: D2680039 00028340
	v_cvt_pk_bf16_f32 v58, v66, v67                            // 00000000DB08: D268003A 00028742
	v_cvt_pk_bf16_f32 v59, v68, v69                            // 00000000DB10: D268003B 00028B44
	v_cvt_pk_bf16_f32 v60, v70, v71                            // 00000000DB18: D268003C 00028F46
	v_cvt_pk_bf16_f32 v61, v72, v73                            // 00000000DB20: D268003D 00029348
	v_cvt_pk_bf16_f32 v62, v74, v75                            // 00000000DB28: D268003E 0002974A
	v_cvt_pk_bf16_f32 v63, v76, v77                            // 00000000DB30: D268003F 00029B4C
	v_cvt_pk_bf16_f32 v64, v78, v79                            // 00000000DB38: D2680040 00029F4E
	v_cvt_pk_bf16_f32 v65, v80, v81                            // 00000000DB40: D2680041 0002A350
	ds_write_b64 v2, v[50:51]                                  // 00000000DB48: D89A0000 00003202
	s_mov_b32 s56, 0x208                                       // 00000000DB50: BEB800FF 00000208
	v_add_u32_e32 v2, s56, v2                                  // 00000000DB58: 68040438
	ds_write_b64 v2, v[52:53]                                  // 00000000DB5C: D89A0000 00003402
	s_mov_b32 s56, 0x208                                       // 00000000DB64: BEB800FF 00000208
	v_add_u32_e32 v2, s56, v2                                  // 00000000DB6C: 68040438
	ds_write_b64 v2, v[54:55]                                  // 00000000DB70: D89A0000 00003602
	s_mov_b32 s56, 0x208                                       // 00000000DB78: BEB800FF 00000208
	v_add_u32_e32 v2, s56, v2                                  // 00000000DB80: 68040438
	ds_write_b64 v2, v[56:57]                                  // 00000000DB84: D89A0000 00003802
	s_mov_b32 s56, 0x208                                       // 00000000DB8C: BEB800FF 00000208
	v_add_u32_e32 v2, s56, v2                                  // 00000000DB94: 68040438
	ds_write_b64 v2, v[58:59]                                  // 00000000DB98: D89A0000 00003A02
	s_mov_b32 s56, 0x208                                       // 00000000DBA0: BEB800FF 00000208
	v_add_u32_e32 v2, s56, v2                                  // 00000000DBA8: 68040438
	ds_write_b64 v2, v[60:61]                                  // 00000000DBAC: D89A0000 00003C02
	s_mov_b32 s56, 0x208                                       // 00000000DBB4: BEB800FF 00000208
	v_add_u32_e32 v2, s56, v2                                  // 00000000DBBC: 68040438
	ds_write_b64 v2, v[62:63]                                  // 00000000DBC0: D89A0000 00003E02
	s_mov_b32 s56, 0x208                                       // 00000000DBC8: BEB800FF 00000208
	v_add_u32_e32 v2, s56, v2                                  // 00000000DBD0: 68040438
	ds_write_b64 v2, v[64:65]                                  // 00000000DBD4: D89A0000 00004002
	s_mov_b32 s56, 0x208                                       // 00000000DBDC: BEB800FF 00000208
	v_add_u32_e32 v2, s56, v2                                  // 00000000DBE4: 68040438
	v_cvt_pk_bf16_f32 v50, v82, v83                            // 00000000DBE8: D2680032 0002A752
	v_cvt_pk_bf16_f32 v51, v84, v85                            // 00000000DBF0: D2680033 0002AB54
	v_cvt_pk_bf16_f32 v52, v86, v87                            // 00000000DBF8: D2680034 0002AF56
	v_cvt_pk_bf16_f32 v53, v88, v89                            // 00000000DC00: D2680035 0002B358
	v_cvt_pk_bf16_f32 v54, v90, v91                            // 00000000DC08: D2680036 0002B75A
	v_cvt_pk_bf16_f32 v55, v92, v93                            // 00000000DC10: D2680037 0002BB5C
	v_cvt_pk_bf16_f32 v56, v94, v95                            // 00000000DC18: D2680038 0002BF5E
	v_cvt_pk_bf16_f32 v57, v96, v97                            // 00000000DC20: D2680039 0002C360
	v_cvt_pk_bf16_f32 v58, v98, v99                            // 00000000DC28: D268003A 0002C762
	v_cvt_pk_bf16_f32 v59, v100, v101                          // 00000000DC30: D268003B 0002CB64
	v_cvt_pk_bf16_f32 v60, v102, v103                          // 00000000DC38: D268003C 0002CF66
	v_cvt_pk_bf16_f32 v61, v104, v105                          // 00000000DC40: D268003D 0002D368
	v_cvt_pk_bf16_f32 v62, v106, v107                          // 00000000DC48: D268003E 0002D76A
	v_cvt_pk_bf16_f32 v63, v108, v109                          // 00000000DC50: D268003F 0002DB6C
	v_cvt_pk_bf16_f32 v64, v110, v111                          // 00000000DC58: D2680040 0002DF6E
	v_cvt_pk_bf16_f32 v65, v112, v113                          // 00000000DC60: D2680041 0002E370
	ds_write_b64 v2, v[50:51]                                  // 00000000DC68: D89A0000 00003202
	s_mov_b32 s56, 0x208                                       // 00000000DC70: BEB800FF 00000208
	v_add_u32_e32 v2, s56, v2                                  // 00000000DC78: 68040438
	ds_write_b64 v2, v[52:53]                                  // 00000000DC7C: D89A0000 00003402
	s_mov_b32 s56, 0x208                                       // 00000000DC84: BEB800FF 00000208
	v_add_u32_e32 v2, s56, v2                                  // 00000000DC8C: 68040438
	ds_write_b64 v2, v[54:55]                                  // 00000000DC90: D89A0000 00003602
	s_mov_b32 s56, 0x208                                       // 00000000DC98: BEB800FF 00000208
	v_add_u32_e32 v2, s56, v2                                  // 00000000DCA0: 68040438
	ds_write_b64 v2, v[56:57]                                  // 00000000DCA4: D89A0000 00003802
	s_mov_b32 s56, 0x208                                       // 00000000DCAC: BEB800FF 00000208
	v_add_u32_e32 v2, s56, v2                                  // 00000000DCB4: 68040438
	ds_write_b64 v2, v[58:59]                                  // 00000000DCB8: D89A0000 00003A02
	s_mov_b32 s56, 0x208                                       // 00000000DCC0: BEB800FF 00000208
	v_add_u32_e32 v2, s56, v2                                  // 00000000DCC8: 68040438
	ds_write_b64 v2, v[60:61]                                  // 00000000DCCC: D89A0000 00003C02
	s_mov_b32 s56, 0x208                                       // 00000000DCD4: BEB800FF 00000208
	v_add_u32_e32 v2, s56, v2                                  // 00000000DCDC: 68040438
	ds_write_b64 v2, v[62:63]                                  // 00000000DCE0: D89A0000 00003E02
	s_mov_b32 s56, 0x208                                       // 00000000DCE8: BEB800FF 00000208
	v_add_u32_e32 v2, s56, v2                                  // 00000000DCF0: 68040438
	ds_write_b64 v2, v[64:65]                                  // 00000000DCF4: D89A0000 00004002
	s_mov_b32 s56, 0x208                                       // 00000000DCFC: BEB800FF 00000208
	v_add_u32_e32 v2, s56, v2                                  // 00000000DD04: 68040438
	v_cvt_pk_bf16_f32 v50, v114, v115                          // 00000000DD08: D2680032 0002E772
	v_cvt_pk_bf16_f32 v51, v116, v117                          // 00000000DD10: D2680033 0002EB74
	v_cvt_pk_bf16_f32 v52, v118, v119                          // 00000000DD18: D2680034 0002EF76
	v_cvt_pk_bf16_f32 v53, v120, v121                          // 00000000DD20: D2680035 0002F378
	v_cvt_pk_bf16_f32 v54, v122, v123                          // 00000000DD28: D2680036 0002F77A
	v_cvt_pk_bf16_f32 v55, v124, v125                          // 00000000DD30: D2680037 0002FB7C
	v_cvt_pk_bf16_f32 v56, v126, v127                          // 00000000DD38: D2680038 0002FF7E
	v_cvt_pk_bf16_f32 v57, v128, v129                          // 00000000DD40: D2680039 00030380
	v_cvt_pk_bf16_f32 v58, v130, v131                          // 00000000DD48: D268003A 00030782
	v_cvt_pk_bf16_f32 v59, v132, v133                          // 00000000DD50: D268003B 00030B84
	v_cvt_pk_bf16_f32 v60, v134, v135                          // 00000000DD58: D268003C 00030F86
	v_cvt_pk_bf16_f32 v61, v136, v137                          // 00000000DD60: D268003D 00031388
	v_cvt_pk_bf16_f32 v62, v138, v139                          // 00000000DD68: D268003E 0003178A
	v_cvt_pk_bf16_f32 v63, v140, v141                          // 00000000DD70: D268003F 00031B8C
	v_cvt_pk_bf16_f32 v64, v142, v143                          // 00000000DD78: D2680040 00031F8E
	v_cvt_pk_bf16_f32 v65, v144, v145                          // 00000000DD80: D2680041 00032390
	ds_write_b64 v2, v[50:51]                                  // 00000000DD88: D89A0000 00003202
	s_mov_b32 s56, 0x208                                       // 00000000DD90: BEB800FF 00000208
	v_add_u32_e32 v2, s56, v2                                  // 00000000DD98: 68040438
	ds_write_b64 v2, v[52:53]                                  // 00000000DD9C: D89A0000 00003402
	s_mov_b32 s56, 0x208                                       // 00000000DDA4: BEB800FF 00000208
	v_add_u32_e32 v2, s56, v2                                  // 00000000DDAC: 68040438
	ds_write_b64 v2, v[54:55]                                  // 00000000DDB0: D89A0000 00003602
	s_mov_b32 s56, 0x208                                       // 00000000DDB8: BEB800FF 00000208
	v_add_u32_e32 v2, s56, v2                                  // 00000000DDC0: 68040438
	ds_write_b64 v2, v[56:57]                                  // 00000000DDC4: D89A0000 00003802
	s_mov_b32 s56, 0x208                                       // 00000000DDCC: BEB800FF 00000208
	v_add_u32_e32 v2, s56, v2                                  // 00000000DDD4: 68040438
	ds_write_b64 v2, v[58:59]                                  // 00000000DDD8: D89A0000 00003A02
	s_mov_b32 s56, 0x208                                       // 00000000DDE0: BEB800FF 00000208
	v_add_u32_e32 v2, s56, v2                                  // 00000000DDE8: 68040438
	ds_write_b64 v2, v[60:61]                                  // 00000000DDEC: D89A0000 00003C02
	s_mov_b32 s56, 0x208                                       // 00000000DDF4: BEB800FF 00000208
	v_add_u32_e32 v2, s56, v2                                  // 00000000DDFC: 68040438
	ds_write_b64 v2, v[62:63]                                  // 00000000DE00: D89A0000 00003E02
	s_mov_b32 s56, 0x208                                       // 00000000DE08: BEB800FF 00000208
	v_add_u32_e32 v2, s56, v2                                  // 00000000DE10: 68040438
	ds_write_b64 v2, v[64:65]                                  // 00000000DE14: D89A0000 00004002
	s_mov_b32 s56, 0x208                                       // 00000000DE1C: BEB800FF 00000208
	v_add_u32_e32 v2, s56, v2                                  // 00000000DE24: 68040438
	v_cvt_pk_bf16_f32 v50, v146, v147                          // 00000000DE28: D2680032 00032792
	v_cvt_pk_bf16_f32 v51, v148, v149                          // 00000000DE30: D2680033 00032B94
	v_cvt_pk_bf16_f32 v52, v150, v151                          // 00000000DE38: D2680034 00032F96
	v_cvt_pk_bf16_f32 v53, v152, v153                          // 00000000DE40: D2680035 00033398
	v_cvt_pk_bf16_f32 v54, v154, v155                          // 00000000DE48: D2680036 0003379A
	v_cvt_pk_bf16_f32 v55, v156, v157                          // 00000000DE50: D2680037 00033B9C
	v_cvt_pk_bf16_f32 v56, v158, v159                          // 00000000DE58: D2680038 00033F9E
	v_cvt_pk_bf16_f32 v57, v160, v161                          // 00000000DE60: D2680039 000343A0
	v_cvt_pk_bf16_f32 v58, v162, v163                          // 00000000DE68: D268003A 000347A2
	v_cvt_pk_bf16_f32 v59, v164, v165                          // 00000000DE70: D268003B 00034BA4
	v_cvt_pk_bf16_f32 v60, v166, v167                          // 00000000DE78: D268003C 00034FA6
	v_cvt_pk_bf16_f32 v61, v168, v169                          // 00000000DE80: D268003D 000353A8
	v_cvt_pk_bf16_f32 v62, v170, v171                          // 00000000DE88: D268003E 000357AA
	v_cvt_pk_bf16_f32 v63, v172, v173                          // 00000000DE90: D268003F 00035BAC
	v_cvt_pk_bf16_f32 v64, v174, v175                          // 00000000DE98: D2680040 00035FAE
	v_cvt_pk_bf16_f32 v65, v176, v177                          // 00000000DEA0: D2680041 000363B0
	ds_write_b64 v2, v[50:51]                                  // 00000000DEA8: D89A0000 00003202
	s_mov_b32 s56, 0x208                                       // 00000000DEB0: BEB800FF 00000208
	v_add_u32_e32 v2, s56, v2                                  // 00000000DEB8: 68040438
	ds_write_b64 v2, v[52:53]                                  // 00000000DEBC: D89A0000 00003402
	s_mov_b32 s56, 0x208                                       // 00000000DEC4: BEB800FF 00000208
	v_add_u32_e32 v2, s56, v2                                  // 00000000DECC: 68040438
	ds_write_b64 v2, v[54:55]                                  // 00000000DED0: D89A0000 00003602
	s_mov_b32 s56, 0x208                                       // 00000000DED8: BEB800FF 00000208
	v_add_u32_e32 v2, s56, v2                                  // 00000000DEE0: 68040438
	ds_write_b64 v2, v[56:57]                                  // 00000000DEE4: D89A0000 00003802
	s_mov_b32 s56, 0x208                                       // 00000000DEEC: BEB800FF 00000208
	v_add_u32_e32 v2, s56, v2                                  // 00000000DEF4: 68040438
	ds_write_b64 v2, v[58:59]                                  // 00000000DEF8: D89A0000 00003A02
	s_mov_b32 s56, 0x208                                       // 00000000DF00: BEB800FF 00000208
	v_add_u32_e32 v2, s56, v2                                  // 00000000DF08: 68040438
	ds_write_b64 v2, v[60:61]                                  // 00000000DF0C: D89A0000 00003C02
	s_mov_b32 s56, 0x208                                       // 00000000DF14: BEB800FF 00000208
	v_add_u32_e32 v2, s56, v2                                  // 00000000DF1C: 68040438
	ds_write_b64 v2, v[62:63]                                  // 00000000DF20: D89A0000 00003E02
	s_mov_b32 s56, 0x208                                       // 00000000DF28: BEB800FF 00000208
	v_add_u32_e32 v2, s56, v2                                  // 00000000DF30: 68040438
	ds_write_b64 v2, v[64:65]                                  // 00000000DF34: D89A0000 00004002
	s_mov_b32 s56, 0x208                                       // 00000000DF3C: BEB800FF 00000208
	v_add_u32_e32 v2, s56, v2                                  // 00000000DF44: 68040438
	s_mov_b32 s56, 0x100                                       // 00000000DF48: BEB800FF 00000100
	v_mul_i32_i24_e32 v2, s56, v0                              // 00000000DF50: 0C040038
	v_lshrrev_b32_e32 v28, 1, v0                               // 00000000DF54: 20380081
	v_lshlrev_b32_e32 v28, 3, v28                              // 00000000DF58: 24383883
	v_add_u32_e32 v2, v2, v28                                  // 00000000DF5C: 68043902
	s_mov_b32 s57, 0x80                                        // 00000000DF60: BEB900FF 00000080
	v_add_u32_e32 v3, s57, v2                                  // 00000000DF68: 68060439
	s_mov_b32 s57, 0x5000                                      // 00000000DF6C: BEB900FF 00005000
	s_mul_i32 s56, s57, s7                                     // 00000000DF74: 92380739
	v_add_u32_e32 v2, s56, v2                                  // 00000000DF78: 68040438
	v_add_u32_e32 v3, s56, v3                                  // 00000000DF7C: 68060638
	s_mul_i32 s56, s75, s7                                     // 00000000DF80: 9238074B
	v_lshlrev_b32_e32 v5, 4, v0                                // 00000000DF84: 240A0084
	v_add_u32_e32 v5, s56, v5                                  // 00000000DF88: 680A0A38
	s_waitcnt lgkmcnt(0)                                       // 00000000DF8C: BF8CC07F
	ds_read_b64 v[50:51], v2                                   // 00000000DF90: D8EC0000 32000002
	ds_read_b64 v[52:53], v3                                   // 00000000DF98: D8EC0000 34000003
	ds_read_b64 v[54:55], v2 offset:8                          // 00000000DFA0: D8EC0008 36000002
	ds_read_b64 v[56:57], v3 offset:8                          // 00000000DFA8: D8EC0008 38000003
	s_waitcnt lgkmcnt(2)                                       // 00000000DFB0: BF8CC27F
	buffer_store_dwordx4 v[50:53], v5, s[8:11], 0 offen        // 00000000DFB4: E07C1000 80023205
	v_add_u32_e32 v5, 0x400, v5                                // 00000000DFBC: 680A0AFF 00000400
	ds_read_b64 v[58:59], v2 offset:16                         // 00000000DFC4: D8EC0010 3A000002
	ds_read_b64 v[60:61], v3 offset:16                         // 00000000DFCC: D8EC0010 3C000003
	s_waitcnt lgkmcnt(2)                                       // 00000000DFD4: BF8CC27F
	buffer_store_dwordx4 v[54:57], v5, s[8:11], 0 offen        // 00000000DFD8: E07C1000 80023605
	v_add_u32_e32 v5, 0x400, v5                                // 00000000DFE0: 680A0AFF 00000400
	ds_read_b64 v[62:63], v2 offset:24                         // 00000000DFE8: D8EC0018 3E000002
	ds_read_b64 v[64:65], v3 offset:24                         // 00000000DFF0: D8EC0018 40000003
	s_waitcnt lgkmcnt(2)                                       // 00000000DFF8: BF8CC27F
	buffer_store_dwordx4 v[58:61], v5, s[8:11], 0 offen        // 00000000DFFC: E07C1000 80023A05
	v_add_u32_e32 v5, 0x400, v5                                // 00000000E004: 680A0AFF 00000400
	s_waitcnt lgkmcnt(0)                                       // 00000000E00C: BF8CC07F
	buffer_store_dwordx4 v[62:65], v5, s[8:11], 0 offen        // 00000000E010: E07C1000 80023E05
	v_add_u32_e32 v5, 0x400, v5                                // 00000000E018: 680A0AFF 00000400
	ds_read_b64 v[66:67], v2 offset:32                         // 00000000E020: D8EC0020 42000002
	ds_read_b64 v[68:69], v3 offset:32                         // 00000000E028: D8EC0020 44000003
	ds_read_b64 v[70:71], v2 offset:40                         // 00000000E030: D8EC0028 46000002
	ds_read_b64 v[72:73], v3 offset:40                         // 00000000E038: D8EC0028 48000003
	s_waitcnt lgkmcnt(2)                                       // 00000000E040: BF8CC27F
	buffer_store_dwordx4 v[66:69], v5, s[8:11], 0 offen        // 00000000E044: E07C1000 80024205
	v_add_u32_e32 v5, 0x400, v5                                // 00000000E04C: 680A0AFF 00000400
	ds_read_b64 v[74:75], v2 offset:48                         // 00000000E054: D8EC0030 4A000002
	ds_read_b64 v[76:77], v3 offset:48                         // 00000000E05C: D8EC0030 4C000003
	s_waitcnt lgkmcnt(2)                                       // 00000000E064: BF8CC27F
	buffer_store_dwordx4 v[70:73], v5, s[8:11], 0 offen        // 00000000E068: E07C1000 80024605
	v_add_u32_e32 v5, 0x400, v5                                // 00000000E070: 680A0AFF 00000400
	ds_read_b64 v[78:79], v2 offset:56                         // 00000000E078: D8EC0038 4E000002
	ds_read_b64 v[80:81], v3 offset:56                         // 00000000E080: D8EC0038 50000003
	s_waitcnt lgkmcnt(2)                                       // 00000000E088: BF8CC27F
	buffer_store_dwordx4 v[74:77], v5, s[8:11], 0 offen        // 00000000E08C: E07C1000 80024A05
	v_add_u32_e32 v5, 0x400, v5                                // 00000000E094: 680A0AFF 00000400
	s_waitcnt lgkmcnt(0)                                       // 00000000E09C: BF8CC07F
	buffer_store_dwordx4 v[78:81], v5, s[8:11], 0 offen        // 00000000E0A0: E07C1000 80024E05
	v_add_u32_e32 v5, 0x400, v5                                // 00000000E0A8: 680A0AFF 00000400
	ds_read_b64 v[82:83], v2 offset:64                         // 00000000E0B0: D8EC0040 52000002
	ds_read_b64 v[84:85], v3 offset:64                         // 00000000E0B8: D8EC0040 54000003
	ds_read_b64 v[86:87], v2 offset:72                         // 00000000E0C0: D8EC0048 56000002
	ds_read_b64 v[88:89], v3 offset:72                         // 00000000E0C8: D8EC0048 58000003
	s_waitcnt lgkmcnt(2)                                       // 00000000E0D0: BF8CC27F
	buffer_store_dwordx4 v[82:85], v5, s[8:11], 0 offen        // 00000000E0D4: E07C1000 80025205
	v_add_u32_e32 v5, 0x400, v5                                // 00000000E0DC: 680A0AFF 00000400
	ds_read_b64 v[90:91], v2 offset:80                         // 00000000E0E4: D8EC0050 5A000002
	ds_read_b64 v[92:93], v3 offset:80                         // 00000000E0EC: D8EC0050 5C000003
	s_waitcnt lgkmcnt(2)                                       // 00000000E0F4: BF8CC27F
	buffer_store_dwordx4 v[86:89], v5, s[8:11], 0 offen        // 00000000E0F8: E07C1000 80025605
	v_add_u32_e32 v5, 0x400, v5                                // 00000000E100: 680A0AFF 00000400
	ds_read_b64 v[94:95], v2 offset:88                         // 00000000E108: D8EC0058 5E000002
	ds_read_b64 v[96:97], v3 offset:88                         // 00000000E110: D8EC0058 60000003
	s_waitcnt lgkmcnt(2)                                       // 00000000E118: BF8CC27F
	buffer_store_dwordx4 v[90:93], v5, s[8:11], 0 offen        // 00000000E11C: E07C1000 80025A05
	v_add_u32_e32 v5, 0x400, v5                                // 00000000E124: 680A0AFF 00000400
	s_waitcnt lgkmcnt(0)                                       // 00000000E12C: BF8CC07F
	buffer_store_dwordx4 v[94:97], v5, s[8:11], 0 offen        // 00000000E130: E07C1000 80025E05
	v_add_u32_e32 v5, 0x400, v5                                // 00000000E138: 680A0AFF 00000400
	ds_read_b64 v[98:99], v2 offset:96                         // 00000000E140: D8EC0060 62000002
	ds_read_b64 v[100:101], v3 offset:96                       // 00000000E148: D8EC0060 64000003
	ds_read_b64 v[102:103], v2 offset:104                      // 00000000E150: D8EC0068 66000002
	ds_read_b64 v[104:105], v3 offset:104                      // 00000000E158: D8EC0068 68000003
	s_waitcnt lgkmcnt(2)                                       // 00000000E160: BF8CC27F
	buffer_store_dwordx4 v[98:101], v5, s[8:11], 0 offen       // 00000000E164: E07C1000 80026205
	v_add_u32_e32 v5, 0x400, v5                                // 00000000E16C: 680A0AFF 00000400
	ds_read_b64 v[106:107], v2 offset:112                      // 00000000E174: D8EC0070 6A000002
	ds_read_b64 v[108:109], v3 offset:112                      // 00000000E17C: D8EC0070 6C000003
	s_waitcnt lgkmcnt(2)                                       // 00000000E184: BF8CC27F
	buffer_store_dwordx4 v[102:105], v5, s[8:11], 0 offen      // 00000000E188: E07C1000 80026605
	v_add_u32_e32 v5, 0x400, v5                                // 00000000E190: 680A0AFF 00000400
	ds_read_b64 v[110:111], v2 offset:120                      // 00000000E198: D8EC0078 6E000002
	ds_read_b64 v[112:113], v3 offset:120                      // 00000000E1A0: D8EC0078 70000003
	s_waitcnt lgkmcnt(2)                                       // 00000000E1A8: BF8CC27F
	buffer_store_dwordx4 v[106:109], v5, s[8:11], 0 offen      // 00000000E1AC: E07C1000 80026A05
	v_add_u32_e32 v5, 0x400, v5                                // 00000000E1B4: 680A0AFF 00000400
	s_waitcnt lgkmcnt(0)                                       // 00000000E1BC: BF8CC07F
	buffer_store_dwordx4 v[110:113], v5, s[8:11], 0 offen      // 00000000E1C0: E07C1000 80026E05
	v_add_u32_e32 v5, 0x400, v5                                // 00000000E1C8: 680A0AFF 00000400
	buffer_store_dword v1, v4, s[96:99], 0 offen               // 00000000E1D0: E0701000 80180104

000000000000e1d8 <label_BEE0>:
	s_waitcnt vmcnt(0) expcnt(0) lgkmcnt(0)                    // 00000000E1D8: BF8C0000
	s_endpgm                                                   // 00000000E1DC: BF810000
